;; amdgpu-corpus repo=ROCm/rocFFT kind=compiled arch=gfx1030 opt=O3
	.text
	.amdgcn_target "amdgcn-amd-amdhsa--gfx1030"
	.amdhsa_code_object_version 6
	.protected	fft_rtc_back_len1260_factors_2_2_3_3_5_7_wgs_63_tpt_63_halfLds_dp_op_CI_CI_unitstride_sbrr_dirReg ; -- Begin function fft_rtc_back_len1260_factors_2_2_3_3_5_7_wgs_63_tpt_63_halfLds_dp_op_CI_CI_unitstride_sbrr_dirReg
	.globl	fft_rtc_back_len1260_factors_2_2_3_3_5_7_wgs_63_tpt_63_halfLds_dp_op_CI_CI_unitstride_sbrr_dirReg
	.p2align	8
	.type	fft_rtc_back_len1260_factors_2_2_3_3_5_7_wgs_63_tpt_63_halfLds_dp_op_CI_CI_unitstride_sbrr_dirReg,@function
fft_rtc_back_len1260_factors_2_2_3_3_5_7_wgs_63_tpt_63_halfLds_dp_op_CI_CI_unitstride_sbrr_dirReg: ; @fft_rtc_back_len1260_factors_2_2_3_3_5_7_wgs_63_tpt_63_halfLds_dp_op_CI_CI_unitstride_sbrr_dirReg
; %bb.0:
	s_clause 0x2
	s_load_dwordx4 s[8:11], s[4:5], 0x0
	s_load_dwordx4 s[12:15], s[4:5], 0x58
	;; [unrolled: 1-line block ×3, first 2 shown]
	v_mul_u32_u24_e32 v2, 0x411, v0
	v_mov_b32_e32 v1, 0
	v_mov_b32_e32 v4, 0
	;; [unrolled: 1-line block ×3, first 2 shown]
	v_add_nc_u32_sdwa v6, s6, v2 dst_sel:DWORD dst_unused:UNUSED_PAD src0_sel:DWORD src1_sel:WORD_1
	v_mov_b32_e32 v7, v1
	s_waitcnt lgkmcnt(0)
	v_cmp_lt_u64_e64 s0, s[10:11], 2
	s_and_b32 vcc_lo, exec_lo, s0
	s_cbranch_vccnz .LBB0_8
; %bb.1:
	s_load_dwordx2 s[0:1], s[4:5], 0x10
	v_mov_b32_e32 v4, 0
	v_mov_b32_e32 v5, 0
	s_add_u32 s2, s18, 8
	s_addc_u32 s3, s19, 0
	s_add_u32 s6, s16, 8
	s_addc_u32 s7, s17, 0
	v_mov_b32_e32 v117, v5
	v_mov_b32_e32 v116, v4
	s_mov_b64 s[22:23], 1
	s_waitcnt lgkmcnt(0)
	s_add_u32 s20, s0, 8
	s_addc_u32 s21, s1, 0
.LBB0_2:                                ; =>This Inner Loop Header: Depth=1
	s_load_dwordx2 s[24:25], s[20:21], 0x0
                                        ; implicit-def: $vgpr118_vgpr119
	s_mov_b32 s0, exec_lo
	s_waitcnt lgkmcnt(0)
	v_or_b32_e32 v2, s25, v7
	v_cmpx_ne_u64_e32 0, v[1:2]
	s_xor_b32 s1, exec_lo, s0
	s_cbranch_execz .LBB0_4
; %bb.3:                                ;   in Loop: Header=BB0_2 Depth=1
	v_cvt_f32_u32_e32 v2, s24
	v_cvt_f32_u32_e32 v3, s25
	s_sub_u32 s0, 0, s24
	s_subb_u32 s26, 0, s25
	v_fmac_f32_e32 v2, 0x4f800000, v3
	v_rcp_f32_e32 v2, v2
	v_mul_f32_e32 v2, 0x5f7ffffc, v2
	v_mul_f32_e32 v3, 0x2f800000, v2
	v_trunc_f32_e32 v3, v3
	v_fmac_f32_e32 v2, 0xcf800000, v3
	v_cvt_u32_f32_e32 v3, v3
	v_cvt_u32_f32_e32 v2, v2
	v_mul_lo_u32 v8, s0, v3
	v_mul_hi_u32 v9, s0, v2
	v_mul_lo_u32 v10, s26, v2
	v_add_nc_u32_e32 v8, v9, v8
	v_mul_lo_u32 v9, s0, v2
	v_add_nc_u32_e32 v8, v8, v10
	v_mul_hi_u32 v10, v2, v9
	v_mul_lo_u32 v11, v2, v8
	v_mul_hi_u32 v12, v2, v8
	v_mul_hi_u32 v13, v3, v9
	v_mul_lo_u32 v9, v3, v9
	v_mul_hi_u32 v14, v3, v8
	v_mul_lo_u32 v8, v3, v8
	v_add_co_u32 v10, vcc_lo, v10, v11
	v_add_co_ci_u32_e32 v11, vcc_lo, 0, v12, vcc_lo
	v_add_co_u32 v9, vcc_lo, v10, v9
	v_add_co_ci_u32_e32 v9, vcc_lo, v11, v13, vcc_lo
	v_add_co_ci_u32_e32 v10, vcc_lo, 0, v14, vcc_lo
	v_add_co_u32 v8, vcc_lo, v9, v8
	v_add_co_ci_u32_e32 v9, vcc_lo, 0, v10, vcc_lo
	v_add_co_u32 v2, vcc_lo, v2, v8
	v_add_co_ci_u32_e32 v3, vcc_lo, v3, v9, vcc_lo
	v_mul_hi_u32 v8, s0, v2
	v_mul_lo_u32 v10, s26, v2
	v_mul_lo_u32 v9, s0, v3
	v_add_nc_u32_e32 v8, v8, v9
	v_mul_lo_u32 v9, s0, v2
	v_add_nc_u32_e32 v8, v8, v10
	v_mul_hi_u32 v10, v2, v9
	v_mul_lo_u32 v11, v2, v8
	v_mul_hi_u32 v12, v2, v8
	v_mul_hi_u32 v13, v3, v9
	v_mul_lo_u32 v9, v3, v9
	v_mul_hi_u32 v14, v3, v8
	v_mul_lo_u32 v8, v3, v8
	v_add_co_u32 v10, vcc_lo, v10, v11
	v_add_co_ci_u32_e32 v11, vcc_lo, 0, v12, vcc_lo
	v_add_co_u32 v9, vcc_lo, v10, v9
	v_add_co_ci_u32_e32 v9, vcc_lo, v11, v13, vcc_lo
	v_add_co_ci_u32_e32 v10, vcc_lo, 0, v14, vcc_lo
	v_add_co_u32 v8, vcc_lo, v9, v8
	v_add_co_ci_u32_e32 v9, vcc_lo, 0, v10, vcc_lo
	v_add_co_u32 v8, vcc_lo, v2, v8
	v_add_co_ci_u32_e32 v10, vcc_lo, v3, v9, vcc_lo
	v_mul_hi_u32 v12, v6, v8
	v_mad_u64_u32 v[8:9], null, v7, v8, 0
	v_mad_u64_u32 v[2:3], null, v6, v10, 0
	;; [unrolled: 1-line block ×3, first 2 shown]
	v_add_co_u32 v2, vcc_lo, v12, v2
	v_add_co_ci_u32_e32 v3, vcc_lo, 0, v3, vcc_lo
	v_add_co_u32 v2, vcc_lo, v2, v8
	v_add_co_ci_u32_e32 v2, vcc_lo, v3, v9, vcc_lo
	v_add_co_ci_u32_e32 v3, vcc_lo, 0, v11, vcc_lo
	v_add_co_u32 v8, vcc_lo, v2, v10
	v_add_co_ci_u32_e32 v9, vcc_lo, 0, v3, vcc_lo
	v_mul_lo_u32 v10, s25, v8
	v_mad_u64_u32 v[2:3], null, s24, v8, 0
	v_mul_lo_u32 v11, s24, v9
	v_sub_co_u32 v2, vcc_lo, v6, v2
	v_add3_u32 v3, v3, v11, v10
	v_sub_nc_u32_e32 v10, v7, v3
	v_subrev_co_ci_u32_e64 v10, s0, s25, v10, vcc_lo
	v_add_co_u32 v11, s0, v8, 2
	v_add_co_ci_u32_e64 v12, s0, 0, v9, s0
	v_sub_co_u32 v13, s0, v2, s24
	v_sub_co_ci_u32_e32 v3, vcc_lo, v7, v3, vcc_lo
	v_subrev_co_ci_u32_e64 v10, s0, 0, v10, s0
	v_cmp_le_u32_e32 vcc_lo, s24, v13
	v_cmp_eq_u32_e64 s0, s25, v3
	v_cndmask_b32_e64 v13, 0, -1, vcc_lo
	v_cmp_le_u32_e32 vcc_lo, s25, v10
	v_cndmask_b32_e64 v14, 0, -1, vcc_lo
	v_cmp_le_u32_e32 vcc_lo, s24, v2
	;; [unrolled: 2-line block ×3, first 2 shown]
	v_cndmask_b32_e64 v15, 0, -1, vcc_lo
	v_cmp_eq_u32_e32 vcc_lo, s25, v10
	v_cndmask_b32_e64 v2, v15, v2, s0
	v_cndmask_b32_e32 v10, v14, v13, vcc_lo
	v_add_co_u32 v13, vcc_lo, v8, 1
	v_add_co_ci_u32_e32 v14, vcc_lo, 0, v9, vcc_lo
	v_cmp_ne_u32_e32 vcc_lo, 0, v10
	v_cndmask_b32_e32 v3, v14, v12, vcc_lo
	v_cndmask_b32_e32 v10, v13, v11, vcc_lo
	v_cmp_ne_u32_e32 vcc_lo, 0, v2
	v_cndmask_b32_e32 v119, v9, v3, vcc_lo
	v_cndmask_b32_e32 v118, v8, v10, vcc_lo
.LBB0_4:                                ;   in Loop: Header=BB0_2 Depth=1
	s_andn2_saveexec_b32 s0, s1
	s_cbranch_execz .LBB0_6
; %bb.5:                                ;   in Loop: Header=BB0_2 Depth=1
	v_cvt_f32_u32_e32 v2, s24
	s_sub_i32 s1, 0, s24
	v_mov_b32_e32 v119, v1
	v_rcp_iflag_f32_e32 v2, v2
	v_mul_f32_e32 v2, 0x4f7ffffe, v2
	v_cvt_u32_f32_e32 v2, v2
	v_mul_lo_u32 v3, s1, v2
	v_mul_hi_u32 v3, v2, v3
	v_add_nc_u32_e32 v2, v2, v3
	v_mul_hi_u32 v2, v6, v2
	v_mul_lo_u32 v3, v2, s24
	v_add_nc_u32_e32 v8, 1, v2
	v_sub_nc_u32_e32 v3, v6, v3
	v_subrev_nc_u32_e32 v9, s24, v3
	v_cmp_le_u32_e32 vcc_lo, s24, v3
	v_cndmask_b32_e32 v3, v3, v9, vcc_lo
	v_cndmask_b32_e32 v2, v2, v8, vcc_lo
	v_cmp_le_u32_e32 vcc_lo, s24, v3
	v_add_nc_u32_e32 v8, 1, v2
	v_cndmask_b32_e32 v118, v2, v8, vcc_lo
.LBB0_6:                                ;   in Loop: Header=BB0_2 Depth=1
	s_or_b32 exec_lo, exec_lo, s0
	v_mul_lo_u32 v8, v119, s24
	v_mul_lo_u32 v9, v118, s25
	s_load_dwordx2 s[0:1], s[6:7], 0x0
	v_mad_u64_u32 v[2:3], null, v118, s24, 0
	s_load_dwordx2 s[24:25], s[2:3], 0x0
	s_add_u32 s22, s22, 1
	s_addc_u32 s23, s23, 0
	s_add_u32 s2, s2, 8
	s_addc_u32 s3, s3, 0
	s_add_u32 s6, s6, 8
	v_add3_u32 v3, v3, v9, v8
	v_sub_co_u32 v2, vcc_lo, v6, v2
	s_addc_u32 s7, s7, 0
	s_add_u32 s20, s20, 8
	v_sub_co_ci_u32_e32 v3, vcc_lo, v7, v3, vcc_lo
	s_addc_u32 s21, s21, 0
	s_waitcnt lgkmcnt(0)
	v_mul_lo_u32 v6, s0, v3
	v_mul_lo_u32 v7, s1, v2
	v_mad_u64_u32 v[4:5], null, s0, v2, v[4:5]
	v_mul_lo_u32 v3, s24, v3
	v_mul_lo_u32 v8, s25, v2
	v_mad_u64_u32 v[116:117], null, s24, v2, v[116:117]
	v_cmp_ge_u64_e64 s0, s[22:23], s[10:11]
	v_add3_u32 v5, v7, v5, v6
	v_add3_u32 v117, v8, v117, v3
	s_and_b32 vcc_lo, exec_lo, s0
	s_cbranch_vccnz .LBB0_9
; %bb.7:                                ;   in Loop: Header=BB0_2 Depth=1
	v_mov_b32_e32 v6, v118
	v_mov_b32_e32 v7, v119
	s_branch .LBB0_2
.LBB0_8:
	v_mov_b32_e32 v117, v5
	v_mov_b32_e32 v119, v7
	;; [unrolled: 1-line block ×4, first 2 shown]
.LBB0_9:
	s_load_dwordx2 s[0:1], s[4:5], 0x28
	v_mul_hi_u32 v1, 0x4104105, v0
	s_lshl_b64 s[4:5], s[10:11], 3
                                        ; implicit-def: $vgpr130
	s_add_u32 s2, s18, s4
	s_addc_u32 s3, s19, s5
	s_waitcnt lgkmcnt(0)
	v_cmp_gt_u64_e32 vcc_lo, s[0:1], v[118:119]
	v_cmp_le_u64_e64 s0, s[0:1], v[118:119]
	s_and_saveexec_b32 s1, s0
	s_xor_b32 s0, exec_lo, s1
; %bb.10:
	v_mul_u32_u24_e32 v1, 63, v1
                                        ; implicit-def: $vgpr4_vgpr5
	v_sub_nc_u32_e32 v130, v0, v1
                                        ; implicit-def: $vgpr1
                                        ; implicit-def: $vgpr0
; %bb.11:
	s_or_saveexec_b32 s1, s0
                                        ; implicit-def: $vgpr58_vgpr59
                                        ; implicit-def: $vgpr42_vgpr43
                                        ; implicit-def: $vgpr62_vgpr63
                                        ; implicit-def: $vgpr46_vgpr47
                                        ; implicit-def: $vgpr66_vgpr67
                                        ; implicit-def: $vgpr10_vgpr11
                                        ; implicit-def: $vgpr22_vgpr23
                                        ; implicit-def: $vgpr2_vgpr3
                                        ; implicit-def: $vgpr26_vgpr27
                                        ; implicit-def: $vgpr6_vgpr7
                                        ; implicit-def: $vgpr30_vgpr31
                                        ; implicit-def: $vgpr14_vgpr15
                                        ; implicit-def: $vgpr34_vgpr35
                                        ; implicit-def: $vgpr18_vgpr19
                                        ; implicit-def: $vgpr38_vgpr39
                                        ; implicit-def: $vgpr54_vgpr55
                                        ; implicit-def: $vgpr70_vgpr71
                                        ; implicit-def: $vgpr50_vgpr51
                                        ; implicit-def: $vgpr78_vgpr79
                                        ; implicit-def: $vgpr74_vgpr75
	s_xor_b32 exec_lo, exec_lo, s1
	s_cbranch_execz .LBB0_13
; %bb.12:
	s_add_u32 s4, s16, s4
	s_addc_u32 s5, s17, s5
	s_load_dwordx2 s[4:5], s[4:5], 0x0
	s_waitcnt lgkmcnt(0)
	v_mul_lo_u32 v6, s5, v118
	v_mul_lo_u32 v7, s4, v119
	v_mad_u64_u32 v[2:3], null, s4, v118, 0
	v_add3_u32 v3, v3, v7, v6
	v_mul_u32_u24_e32 v6, 63, v1
	v_lshlrev_b64 v[1:2], 4, v[2:3]
	v_lshlrev_b64 v[3:4], 4, v[4:5]
	v_sub_nc_u32_e32 v130, v0, v6
	v_add_co_u32 v0, s0, s12, v1
	v_add_co_ci_u32_e64 v1, s0, s13, v2, s0
	v_lshlrev_b32_e32 v2, 4, v130
	v_add_co_u32 v0, s0, v0, v3
	v_add_co_ci_u32_e64 v1, s0, v1, v4, s0
	v_add_co_u32 v40, s0, v0, v2
	v_add_co_ci_u32_e64 v41, s0, 0, v1, s0
	;; [unrolled: 2-line block ×11, first 2 shown]
	s_clause 0x13
	global_load_dwordx4 v[36:39], v[44:45], off offset:1856
	global_load_dwordx4 v[16:19], v[0:1], off offset:976
	;; [unrolled: 1-line block ×10, first 2 shown]
	global_load_dwordx4 v[72:75], v[40:41], off
	global_load_dwordx4 v[48:51], v[40:41], off offset:1008
	global_load_dwordx4 v[68:71], v[44:45], off offset:848
	;; [unrolled: 1-line block ×9, first 2 shown]
.LBB0_13:
	s_or_b32 exec_lo, exec_lo, s1
	s_waitcnt vmcnt(17)
	v_add_f64 v[92:93], v[16:17], -v[32:33]
	s_waitcnt vmcnt(2)
	v_add_f64 v[108:109], v[8:9], -v[64:65]
	v_add_f64 v[100:101], v[4:5], -v[24:25]
	;; [unrolled: 1-line block ×9, first 2 shown]
	s_waitcnt vmcnt(1)
	v_add_f64 v[112:113], v[44:45], -v[60:61]
	v_add_f64 v[32:33], v[54:55], -v[38:39]
	s_waitcnt vmcnt(0)
	v_add_f64 v[122:123], v[40:41], -v[56:57]
	v_add_f64 v[36:37], v[18:19], -v[34:35]
	;; [unrolled: 1-line block ×4, first 2 shown]
	v_add_nc_u32_e32 v132, 63, v130
	v_add_nc_u32_e32 v136, 0x13b, v130
	;; [unrolled: 1-line block ×4, first 2 shown]
	v_lshl_add_u32 v133, v130, 3, 0
	v_add_nc_u32_e32 v134, 0xbd, v130
	v_fma_f64 v[90:91], v[16:17], 2.0, -v[92:93]
	v_add_f64 v[16:17], v[14:15], -v[30:31]
	v_fma_f64 v[106:107], v[8:9], 2.0, -v[108:109]
	v_add_f64 v[8:9], v[6:7], -v[26:27]
	;; [unrolled: 2-line block ×4, first 2 shown]
	v_fma_f64 v[78:79], v[72:73], 2.0, -v[80:81]
	v_fma_f64 v[82:83], v[48:49], 2.0, -v[84:85]
	;; [unrolled: 1-line block ×11, first 2 shown]
	v_add_nc_u32_e32 v25, 0x1b9, v130
	v_fma_f64 v[58:59], v[46:47], 2.0, -v[60:61]
	v_add_nc_u32_e32 v137, 0xfc, v130
	v_add_nc_u32_e32 v124, 0x1f8, v130
	v_fma_f64 v[14:15], v[14:15], 2.0, -v[16:17]
	v_lshl_add_u32 v24, v130, 4, 0
	v_fma_f64 v[6:7], v[6:7], 2.0, -v[8:9]
	v_add_nc_u32_e32 v125, 0x237, v130
	v_fma_f64 v[2:3], v[2:3], 2.0, -v[4:5]
	v_lshl_add_u32 v0, v132, 4, 0
	v_fma_f64 v[10:11], v[10:11], 2.0, -v[12:13]
	v_lshl_add_u32 v68, v136, 4, 0
	v_lshl_add_u32 v1, v131, 4, 0
	;; [unrolled: 1-line block ×3, first 2 shown]
	v_add_nc_u32_e32 v138, 0x1000, v133
	v_add_nc_u32_e32 v38, 0x1400, v133
	v_lshl_add_u32 v56, v134, 4, 0
	v_lshl_add_u32 v72, v25, 4, 0
	v_add_nc_u32_e32 v139, 0x400, v133
	v_lshl_add_u32 v57, v137, 4, 0
	v_lshl_add_u32 v73, v124, 4, 0
	v_add_nc_u32_e32 v142, 0x1800, v133
	ds_write_b128 v24, v[78:81]
	ds_write_b128 v0, v[82:85]
	;; [unrolled: 1-line block ×5, first 2 shown]
	v_lshl_add_u32 v78, v125, 4, 0
	v_add_nc_u32_e32 v143, 0x800, v133
	ds_write_b128 v68, v[98:101]
	ds_write_b128 v69, v[102:105]
	;; [unrolled: 1-line block ×5, first 2 shown]
	v_add_nc_u32_e32 v141, 0x1c00, v133
	s_load_dwordx2 s[2:3], s[2:3], 0x0
	s_waitcnt lgkmcnt(0)
	s_barrier
	buffer_gl0_inv
	v_add_nc_u32_e32 v154, 0xc00, v133
	v_add_nc_u32_e32 v140, 0x2000, v133
	ds_read2_b64 v[96:99], v133 offset1:63
	ds_read2_b64 v[48:51], v138 offset0:118 offset1:181
	ds_read2_b64 v[100:103], v133 offset0:126 offset1:189
	;; [unrolled: 1-line block ×9, first 2 shown]
	s_waitcnt lgkmcnt(0)
	s_barrier
	buffer_gl0_inv
	ds_write_b128 v24, v[74:77]
	ds_write_b128 v0, v[26:29]
	;; [unrolled: 1-line block ×5, first 2 shown]
	v_and_b32_e32 v24, 1, v130
	v_and_b32_e32 v26, 1, v125
	v_and_b32_e32 v27, 1, v134
	v_and_b32_e32 v28, 1, v136
	v_and_b32_e32 v29, 1, v25
	v_lshlrev_b32_e32 v0, 4, v24
	v_lshlrev_b32_e32 v1, 4, v26
	ds_write_b128 v68, v[6:9]
	ds_write_b128 v69, v[2:5]
	;; [unrolled: 1-line block ×5, first 2 shown]
	s_waitcnt lgkmcnt(0)
	s_barrier
	buffer_gl0_inv
	s_clause 0x1
	global_load_dwordx4 v[56:59], v0, s[8:9]
	global_load_dwordx4 v[60:63], v1, s[8:9]
	v_lshlrev_b32_e32 v2, 4, v27
	v_lshlrev_b32_e32 v0, 4, v28
	;; [unrolled: 1-line block ×3, first 2 shown]
	s_clause 0x3
	global_load_dwordx4 v[64:67], v2, s[8:9]
	global_load_dwordx4 v[72:75], v0, s[8:9]
	global_load_dwordx4 v[68:71], v3, s[8:9]
	global_load_dwordx2 v[126:127], v1, s[8:9] offset:8
	v_and_b32_e32 v30, 1, v132
	v_lshlrev_b32_e32 v31, 1, v130
	v_lshlrev_b32_e32 v34, 1, v134
	;; [unrolled: 1-line block ×5, first 2 shown]
	v_and_or_b32 v31, 0x7c, v31, v24
	v_lshlrev_b32_e32 v32, 1, v132
	v_lshlrev_b32_e32 v33, 1, v131
	;; [unrolled: 1-line block ×3, first 2 shown]
	global_load_dwordx2 v[128:129], v0, s[8:9]
	ds_read2_b64 v[80:83], v138 offset0:118 offset1:181
	ds_read2_b64 v[76:79], v38 offset0:116 offset1:179
	;; [unrolled: 1-line block ×5, first 2 shown]
	v_lshlrev_b32_e32 v25, 1, v25
	v_lshlrev_b32_e32 v38, 1, v124
	;; [unrolled: 1-line block ×3, first 2 shown]
	v_lshl_add_u32 v144, v31, 3, 0
	v_and_or_b32 v30, 0xfc, v32, v30
	v_and_or_b32 v31, 0x1fc, v33, v24
	;; [unrolled: 1-line block ×6, first 2 shown]
	v_lshl_add_u32 v145, v30, 3, 0
	v_lshl_add_u32 v146, v31, 3, 0
	;; [unrolled: 1-line block ×6, first 2 shown]
	v_cmp_gt_u32_e64 s0, 42, v130
                                        ; implicit-def: $vgpr124_vgpr125
	s_waitcnt vmcnt(6) lgkmcnt(4)
	v_mul_f64 v[0:1], v[80:81], v[58:59]
	s_waitcnt vmcnt(5)
	v_mul_f64 v[2:3], v[82:83], v[62:63]
	s_waitcnt lgkmcnt(3)
	v_mul_f64 v[4:5], v[76:77], v[58:59]
	s_waitcnt lgkmcnt(2)
	v_mul_f64 v[8:9], v[88:89], v[58:59]
	s_waitcnt vmcnt(4)
	v_mul_f64 v[6:7], v[78:79], v[66:67]
	s_waitcnt vmcnt(3)
	v_mul_f64 v[10:11], v[90:91], v[74:75]
	s_waitcnt lgkmcnt(1)
	v_mul_f64 v[12:13], v[92:93], v[58:59]
	s_waitcnt vmcnt(2)
	v_mul_f64 v[14:15], v[94:95], v[70:71]
	s_waitcnt lgkmcnt(0)
	v_mul_f64 v[16:17], v[84:85], v[58:59]
	s_waitcnt vmcnt(1)
	v_mul_f64 v[18:19], v[86:87], v[126:127]
	v_fma_f64 v[0:1], v[48:49], v[56:57], v[0:1]
	s_waitcnt vmcnt(0)
	v_fma_f64 v[2:3], v[50:51], v[128:129], v[2:3]
	v_fma_f64 v[4:5], v[52:53], v[56:57], v[4:5]
	;; [unrolled: 1-line block ×9, first 2 shown]
	v_add_f64 v[0:1], v[96:97], -v[0:1]
	v_add_f64 v[2:3], v[98:99], -v[2:3]
	;; [unrolled: 1-line block ×10, first 2 shown]
	v_and_or_b32 v18, 0x1fc, v34, v27
	v_and_or_b32 v19, 0x3fc, v35, v24
	;; [unrolled: 1-line block ×3, first 2 shown]
	v_lshl_add_u32 v147, v18, 3, 0
	v_lshl_add_u32 v148, v19, 3, 0
	;; [unrolled: 1-line block ×3, first 2 shown]
	v_fma_f64 v[18:19], v[96:97], 2.0, -v[0:1]
	v_fma_f64 v[24:25], v[98:99], 2.0, -v[2:3]
	;; [unrolled: 1-line block ×10, first 2 shown]
	ds_read2_b64 v[96:99], v154 offset0:120 offset1:183
	ds_read2_b64 v[112:115], v133 offset1:63
	ds_read2_b64 v[108:111], v133 offset0:126 offset1:189
	ds_read2_b64 v[104:107], v139 offset0:124 offset1:187
	;; [unrolled: 1-line block ×3, first 2 shown]
	s_waitcnt lgkmcnt(0)
	s_barrier
	buffer_gl0_inv
	ds_write2_b64 v144, v[18:19], v[0:1] offset1:2
	ds_write2_b64 v145, v[24:25], v[2:3] offset1:2
	;; [unrolled: 1-line block ×10, first 2 shown]
	s_waitcnt lgkmcnt(0)
	s_barrier
	buffer_gl0_inv
	ds_read2_b64 v[8:11], v133 offset1:63
	ds_read2_b64 v[32:35], v143 offset0:164 offset1:227
	ds_read2_b64 v[36:39], v142 offset0:72 offset1:135
	;; [unrolled: 1-line block ×8, first 2 shown]
	s_and_saveexec_b32 s1, s0
	s_cbranch_execz .LBB0_15
; %bb.14:
	ds_read_b64 v[120:121], v133 offset:3024
	ds_read_b64 v[122:123], v133 offset:6384
	ds_read_b64 v[124:125], v133 offset:9744
.LBB0_15:
	s_or_b32 exec_lo, exec_lo, s1
	v_mul_f64 v[48:49], v[48:49], v[58:59]
	v_mul_f64 v[50:51], v[50:51], v[62:63]
	;; [unrolled: 1-line block ×10, first 2 shown]
	s_waitcnt lgkmcnt(0)
	s_barrier
	buffer_gl0_inv
	v_fma_f64 v[48:49], v[80:81], v[56:57], -v[48:49]
	v_fma_f64 v[50:51], v[82:83], v[128:129], -v[50:51]
	;; [unrolled: 1-line block ×10, first 2 shown]
                                        ; implicit-def: $vgpr76_vgpr77
	v_add_f64 v[48:49], v[112:113], -v[48:49]
	v_add_f64 v[50:51], v[114:115], -v[50:51]
	;; [unrolled: 1-line block ×10, first 2 shown]
	v_fma_f64 v[22:23], v[112:113], 2.0, -v[48:49]
	v_fma_f64 v[56:57], v[114:115], 2.0, -v[50:51]
	v_fma_f64 v[58:59], v[108:109], 2.0, -v[52:53]
	v_fma_f64 v[60:61], v[110:111], 2.0, -v[54:55]
	v_fma_f64 v[62:63], v[104:105], 2.0, -v[44:45]
	v_fma_f64 v[64:65], v[106:107], 2.0, -v[46:47]
	v_fma_f64 v[66:67], v[100:101], 2.0, -v[40:41]
	v_fma_f64 v[68:69], v[102:103], 2.0, -v[42:43]
	v_fma_f64 v[70:71], v[96:97], 2.0, -v[20:21]
	v_fma_f64 v[74:75], v[98:99], 2.0, -v[72:73]
	ds_write2_b64 v144, v[22:23], v[48:49] offset1:2
	ds_write2_b64 v145, v[56:57], v[50:51] offset1:2
	;; [unrolled: 1-line block ×10, first 2 shown]
	s_waitcnt lgkmcnt(0)
	s_barrier
	buffer_gl0_inv
	ds_read2_b64 v[44:47], v133 offset1:63
	ds_read2_b64 v[64:67], v143 offset0:164 offset1:227
	ds_read2_b64 v[68:71], v142 offset0:72 offset1:135
	;; [unrolled: 1-line block ×8, first 2 shown]
	s_and_saveexec_b32 s1, s0
	s_cbranch_execz .LBB0_17
; %bb.16:
	ds_read_b64 v[74:75], v133 offset:3024
	ds_read_b64 v[72:73], v133 offset:6384
	;; [unrolled: 1-line block ×3, first 2 shown]
.LBB0_17:
	s_or_b32 exec_lo, exec_lo, s1
	v_and_b32_e32 v192, 3, v130
	v_and_b32_e32 v193, 3, v136
	;; [unrolled: 1-line block ×5, first 2 shown]
	v_lshlrev_b32_e32 v82, 5, v192
	v_lshlrev_b32_e32 v84, 5, v193
	;; [unrolled: 1-line block ×4, first 2 shown]
	v_and_b32_e32 v196, 3, v131
	s_clause 0xb
	global_load_dwordx4 v[78:81], v82, s[8:9] offset:32
	global_load_dwordx4 v[126:129], v84, s[8:9] offset:32
	;; [unrolled: 1-line block ×8, first 2 shown]
	global_load_dwordx2 v[82:83], v84, s[8:9] offset:56
	global_load_dwordx4 v[108:111], v84, s[8:9] offset:40
	global_load_dwordx2 v[84:85], v86, s[8:9] offset:56
	global_load_dwordx4 v[162:165], v86, s[8:9] offset:40
	v_lshlrev_b32_e32 v86, 5, v195
	v_lshrrev_b32_e32 v90, 2, v137
	v_lshlrev_b32_e32 v87, 5, v196
	s_clause 0x1
	global_load_dwordx2 v[114:115], v86, s[8:9] offset:32
	global_load_dwordx2 v[166:167], v87, s[8:9] offset:32
	v_lshrrev_b32_e32 v86, 2, v130
	v_lshrrev_b32_e32 v87, 2, v132
	;; [unrolled: 1-line block ×5, first 2 shown]
	v_mul_u32_u24_e32 v197, 12, v86
	v_mul_u32_u24_e32 v198, 12, v87
	v_mul_u32_u24_e32 v201, 12, v90
	v_mul_u32_u24_e32 v202, 12, v91
	v_mul_u32_u24_e32 v199, 12, v88
	v_mul_u32_u24_e32 v200, 12, v89
	s_mov_b32 s4, 0xe8584caa
	s_mov_b32 s5, 0xbfebb67a
	;; [unrolled: 1-line block ×4, first 2 shown]
	v_lshrrev_b32_e32 v113, 2, v135
	s_waitcnt vmcnt(0) lgkmcnt(0)
	s_barrier
	buffer_gl0_inv
	v_mul_f64 v[90:91], v[68:69], v[140:141]
	v_mul_f64 v[92:93], v[70:71], v[144:145]
	;; [unrolled: 1-line block ×25, first 2 shown]
	v_fma_f64 v[106:107], v[36:37], v[138:139], v[90:91]
	v_fma_f64 v[94:95], v[38:39], v[110:111], v[92:93]
	v_mul_f64 v[184:185], v[30:31], v[82:83]
	v_fma_f64 v[90:91], v[30:31], v[142:143], v[174:175]
	v_fma_f64 v[104:105], v[32:33], v[78:79], v[86:87]
	;; [unrolled: 1-line block ×10, first 2 shown]
	v_mul_f64 v[140:141], v[28:29], v[140:141]
	v_fma_f64 v[88:89], v[28:29], v[138:139], v[172:173]
	v_fma_f64 v[100:101], v[12:13], v[78:79], v[176:177]
	v_mul_f64 v[188:189], v[14:15], v[108:109]
	v_fma_f64 v[108:109], v[64:65], v[78:79], -v[168:169]
	v_fma_f64 v[64:65], v[68:69], v[138:139], -v[170:171]
	;; [unrolled: 1-line block ×9, first 2 shown]
	v_add_f64 v[12:13], v[104:105], v[106:107]
	v_fma_f64 v[110:111], v[72:73], v[146:147], -v[162:163]
	v_fma_f64 v[52:53], v[76:77], v[154:155], -v[190:191]
	v_add_f64 v[26:27], v[102:103], v[90:91]
	v_add_f64 v[18:19], v[86:87], v[98:99]
	;; [unrolled: 1-line block ×4, first 2 shown]
	v_fma_f64 v[50:51], v[50:51], v[142:143], -v[184:185]
	v_add_f64 v[16:17], v[84:85], v[96:97]
	v_fma_f64 v[48:49], v[48:49], v[138:139], -v[140:141]
	v_add_f64 v[30:31], v[8:9], v[104:105]
	v_add_f64 v[24:25], v[100:101], v[88:89]
	v_fma_f64 v[54:55], v[54:55], v[126:127], -v[188:189]
	v_add_f64 v[72:73], v[0:1], v[100:101]
	v_add_f64 v[32:33], v[108:109], -v[64:65]
	v_add_f64 v[76:77], v[2:3], v[102:103]
	v_add_f64 v[78:79], v[120:121], v[92:93]
	v_add_f64 v[34:35], v[10:11], v[82:83]
	v_add_f64 v[36:37], v[4:5], v[84:85]
	v_add_f64 v[38:39], v[6:7], v[86:87]
	v_or_b32_e32 v114, v197, v192
	v_or_b32_e32 v115, v198, v195
	v_fma_f64 v[8:9], v[12:13], -0.5, v[8:9]
	v_add_f64 v[12:13], v[68:69], -v[66:67]
	v_fma_f64 v[2:3], v[26:27], -0.5, v[2:3]
	v_add_f64 v[26:27], v[110:111], -v[52:53]
	v_fma_f64 v[28:29], v[28:29], -0.5, v[120:121]
	v_fma_f64 v[10:11], v[14:15], -0.5, v[10:11]
	v_add_f64 v[14:15], v[70:71], -v[56:57]
	v_fma_f64 v[4:5], v[16:17], -0.5, v[4:5]
	v_add_f64 v[16:17], v[60:61], -v[58:59]
	;; [unrolled: 2-line block ×4, first 2 shown]
	v_add_f64 v[30:31], v[30:31], v[106:107]
	v_add_f64 v[124:125], v[72:73], v[88:89]
	;; [unrolled: 1-line block ×7, first 2 shown]
	v_or_b32_e32 v120, v199, v196
	v_fma_f64 v[128:129], v[32:33], s[4:5], v[8:9]
	v_fma_f64 v[8:9], v[32:33], s[6:7], v[8:9]
	v_lshl_add_u32 v123, v114, 3, 0
	v_lshl_add_u32 v122, v115, 3, 0
	;; [unrolled: 1-line block ×3, first 2 shown]
	v_fma_f64 v[76:77], v[26:27], s[4:5], v[28:29]
	v_fma_f64 v[78:79], v[26:27], s[6:7], v[28:29]
	;; [unrolled: 1-line block ×12, first 2 shown]
	v_or_b32_e32 v24, v200, v194
	v_or_b32_e32 v25, v201, v192
	;; [unrolled: 1-line block ×3, first 2 shown]
	v_lshl_add_u32 v120, v24, 3, 0
	v_lshl_add_u32 v115, v25, 3, 0
	;; [unrolled: 1-line block ×3, first 2 shown]
	ds_write2_b64 v123, v[30:31], v[128:129] offset1:4
	ds_write_b64 v123, v[8:9] offset:64
	ds_write2_b64 v122, v[34:35], v[32:33] offset1:4
	ds_write_b64 v122, v[10:11] offset:64
	;; [unrolled: 2-line block ×6, first 2 shown]
	s_and_saveexec_b32 s1, s0
	s_cbranch_execz .LBB0_19
; %bb.18:
	v_mul_u32_u24_e32 v0, 12, v113
	v_or_b32_e32 v0, v0, v112
	v_lshl_add_u32 v0, v0, 3, 0
	ds_write2_b64 v0, v[72:73], v[76:77] offset1:4
	ds_write_b64 v0, v[78:79] offset:64
.LBB0_19:
	s_or_b32 exec_lo, exec_lo, s1
	v_add_nc_u32_e32 v24, 0x1000, v133
	v_add_nc_u32_e32 v4, 0x800, v133
	;; [unrolled: 1-line block ×6, first 2 shown]
	s_waitcnt lgkmcnt(0)
	s_barrier
	buffer_gl0_inv
	ds_read2_b64 v[0:3], v133 offset1:63
	ds_read2_b64 v[12:15], v4 offset0:164 offset1:227
	ds_read2_b64 v[16:19], v5 offset0:72 offset1:135
	;; [unrolled: 1-line block ×8, first 2 shown]
	s_and_saveexec_b32 s1, s0
	s_cbranch_execz .LBB0_21
; %bb.20:
	ds_read_b64 v[72:73], v133 offset:3024
	ds_read_b64 v[76:77], v133 offset:6384
	;; [unrolled: 1-line block ×3, first 2 shown]
.LBB0_21:
	s_or_b32 exec_lo, exec_lo, s1
	v_add_f64 v[124:125], v[108:109], v[64:65]
	v_add_f64 v[126:127], v[68:69], v[66:67]
	;; [unrolled: 1-line block ×8, first 2 shown]
	v_add_f64 v[104:105], v[104:105], -v[106:107]
	v_add_f64 v[68:69], v[46:47], v[68:69]
	v_add_f64 v[54:55], v[22:23], v[54:55]
	;; [unrolled: 1-line block ×3, first 2 shown]
	v_add_f64 v[82:83], v[82:83], -v[94:95]
	v_add_f64 v[80:81], v[92:93], -v[80:81]
	v_add_f64 v[70:71], v[40:41], v[70:71]
	v_add_f64 v[60:61], v[42:43], v[60:61]
	v_add_f64 v[84:85], v[84:85], -v[96:97]
	v_add_f64 v[62:63], v[20:21], v[62:63]
	v_add_f64 v[86:87], v[86:87], -v[98:99]
	v_add_f64 v[88:89], v[100:101], -v[88:89]
	v_add_f64 v[90:91], v[102:103], -v[90:91]
	s_mov_b32 s4, 0xe8584caa
	v_fma_f64 v[44:45], v[124:125], -0.5, v[44:45]
	v_fma_f64 v[46:47], v[126:127], -0.5, v[46:47]
	;; [unrolled: 1-line block ×7, first 2 shown]
	s_mov_b32 s5, 0x3febb67a
	s_mov_b32 s7, 0xbfebb67a
	;; [unrolled: 1-line block ×3, first 2 shown]
	v_add_f64 v[64:65], v[108:109], v[64:65]
	v_add_f64 v[50:51], v[54:55], v[50:51]
	;; [unrolled: 1-line block ×6, first 2 shown]
	s_waitcnt lgkmcnt(0)
	v_add_f64 v[48:49], v[62:63], v[48:49]
	s_barrier
	buffer_gl0_inv
	v_fma_f64 v[52:53], v[104:105], s[4:5], v[44:45]
	v_fma_f64 v[54:55], v[82:83], s[4:5], v[46:47]
	;; [unrolled: 1-line block ×14, first 2 shown]
	ds_write2_b64 v123, v[64:65], v[52:53] offset1:4
	ds_write_b64 v123, v[44:45] offset:64
	ds_write2_b64 v122, v[66:67], v[54:55] offset1:4
	ds_write_b64 v122, v[46:47] offset:64
	;; [unrolled: 2-line block ×6, first 2 shown]
	s_and_saveexec_b32 s1, s0
	s_cbranch_execz .LBB0_23
; %bb.22:
	v_mul_u32_u24_e32 v20, 12, v113
	v_or_b32_e32 v20, v20, v112
	v_lshl_add_u32 v20, v20, 3, 0
	ds_write2_b64 v20, v[74:75], v[82:83] offset1:4
	ds_write_b64 v20, v[80:81] offset:64
.LBB0_23:
	s_or_b32 exec_lo, exec_lo, s1
	v_add_nc_u32_e32 v56, 0x1000, v133
	v_add_nc_u32_e32 v40, 0x800, v133
	;; [unrolled: 1-line block ×6, first 2 shown]
	s_waitcnt lgkmcnt(0)
	s_barrier
	buffer_gl0_inv
	ds_read2_b64 v[20:23], v133 offset1:63
	ds_read2_b64 v[48:51], v40 offset0:164 offset1:227
	ds_read2_b64 v[52:55], v41 offset0:72 offset1:135
	;; [unrolled: 1-line block ×8, first 2 shown]
	s_and_saveexec_b32 s1, s0
	s_cbranch_execz .LBB0_25
; %bb.24:
	ds_read_b64 v[74:75], v133 offset:3024
	ds_read_b64 v[82:83], v133 offset:6384
	;; [unrolled: 1-line block ×3, first 2 shown]
.LBB0_25:
	s_or_b32 exec_lo, exec_lo, s1
	v_and_b32_e32 v84, 0xff, v130
	v_and_b32_e32 v96, 0xff, v132
	;; [unrolled: 1-line block ×3, first 2 shown]
	v_mov_b32_e32 v87, 0xaaab
	v_and_b32_e32 v94, 0xff, v134
	v_mul_lo_u16 v84, 0xab, v84
	v_mul_lo_u16 v86, 0xab, v96
	;; [unrolled: 1-line block ×3, first 2 shown]
	v_mul_u32_u24_sdwa v90, v137, v87 dst_sel:DWORD dst_unused:UNUSED_PAD src0_sel:WORD_0 src1_sel:DWORD
	v_mul_lo_u16 v89, 0xab, v94
	v_lshrrev_b16 v84, 11, v84
	v_lshrrev_b16 v86, 11, v86
	;; [unrolled: 1-line block ×3, first 2 shown]
	v_mov_b32_e32 v85, 5
	v_mul_u32_u24_sdwa v92, v136, v87 dst_sel:DWORD dst_unused:UNUSED_PAD src0_sel:WORD_0 src1_sel:DWORD
	v_mul_lo_u16 v91, v84, 12
	v_mul_lo_u16 v93, v86, 12
	v_mul_u32_u24_sdwa v87, v135, v87 dst_sel:DWORD dst_unused:UNUSED_PAD src0_sel:WORD_0 src1_sel:DWORD
	v_lshrrev_b32_e32 v90, 19, v90
	v_lshrrev_b16 v89, 11, v89
	v_sub_nc_u16 v188, v130, v91
	v_mul_lo_u16 v91, v88, 12
	v_sub_nc_u16 v189, v132, v93
	v_lshrrev_b32_e32 v92, 19, v92
	v_lshrrev_b32_e32 v87, 19, v87
	v_lshlrev_b32_sdwa v93, v85, v188 dst_sel:DWORD dst_unused:UNUSED_PAD src0_sel:DWORD src1_sel:BYTE_0
	v_sub_nc_u16 v190, v131, v91
	v_mul_lo_u16 v91, v90, 12
	v_lshlrev_b32_sdwa v97, v85, v189 dst_sel:DWORD dst_unused:UNUSED_PAD src0_sel:DWORD src1_sel:BYTE_0
	v_mul_lo_u16 v98, v89, 12
	s_clause 0x3
	global_load_dwordx4 v[100:103], v93, s[8:9] offset:176
	global_load_dwordx4 v[104:107], v93, s[8:9] offset:160
	;; [unrolled: 1-line block ×4, first 2 shown]
	v_mul_lo_u16 v93, v92, 12
	v_lshlrev_b32_sdwa v97, v85, v190 dst_sel:DWORD dst_unused:UNUSED_PAD src0_sel:DWORD src1_sel:BYTE_0
	v_sub_nc_u16 v192, v137, v91
	v_mul_lo_u16 v91, v87, 12
	v_sub_nc_u16 v191, v134, v98
	v_sub_nc_u16 v193, v136, v93
	s_clause 0x1
	global_load_dwordx4 v[120:123], v97, s[8:9] offset:160
	global_load_dwordx4 v[124:127], v97, s[8:9] offset:176
	v_lshlrev_b32_sdwa v93, v85, v192 dst_sel:DWORD dst_unused:UNUSED_PAD src0_sel:DWORD src1_sel:WORD_0
	v_sub_nc_u16 v97, v135, v91
	v_lshlrev_b32_sdwa v98, v85, v191 dst_sel:DWORD dst_unused:UNUSED_PAD src0_sel:DWORD src1_sel:BYTE_0
	v_lshlrev_b32_sdwa v99, v85, v193 dst_sel:DWORD dst_unused:UNUSED_PAD src0_sel:DWORD src1_sel:WORD_0
	v_mul_u32_u24_e32 v197, 0x120, v90
	v_mul_u32_u24_e32 v198, 0x120, v92
	v_lshlrev_b32_sdwa v85, v85, v97 dst_sel:DWORD dst_unused:UNUSED_PAD src0_sel:DWORD src1_sel:WORD_0
	s_clause 0x7
	global_load_dwordx4 v[136:139], v98, s[8:9] offset:160
	global_load_dwordx4 v[140:143], v98, s[8:9] offset:176
	;; [unrolled: 1-line block ×8, first 2 shown]
	v_mov_b32_e32 v85, 0x120
	v_mul_lo_u16 v98, v87, 36
	s_mov_b32 s6, 0xe8584caa
	s_mov_b32 s7, 0xbfebb67a
	;; [unrolled: 1-line block ×3, first 2 shown]
	v_mul_u32_u24_sdwa v135, v84, v85 dst_sel:DWORD dst_unused:UNUSED_PAD src0_sel:WORD_0 src1_sel:DWORD
	v_mul_u32_u24_sdwa v194, v86, v85 dst_sel:DWORD dst_unused:UNUSED_PAD src0_sel:WORD_0 src1_sel:DWORD
	;; [unrolled: 1-line block ×4, first 2 shown]
	s_mov_b32 s4, s6
	v_mov_b32_e32 v99, 3
	s_waitcnt vmcnt(0) lgkmcnt(0)
	s_barrier
	buffer_gl0_inv
	v_mul_f64 v[88:89], v[52:53], v[102:103]
	v_mul_f64 v[84:85], v[48:49], v[106:107]
	;; [unrolled: 1-line block ×25, first 2 shown]
	v_fma_f64 v[90:91], v[12:13], v[104:105], v[84:85]
	v_fma_f64 v[92:93], v[16:17], v[100:101], v[88:89]
	;; [unrolled: 1-line block ×6, first 2 shown]
	v_mul_f64 v[150:151], v[24:25], v[150:151]
	v_mul_f64 v[158:159], v[30:31], v[158:159]
	;; [unrolled: 1-line block ×3, first 2 shown]
	v_fma_f64 v[64:65], v[64:65], v[120:121], -v[122:123]
	v_fma_f64 v[32:33], v[34:35], v[136:137], v[170:171]
	v_fma_f64 v[34:35], v[38:39], v[140:141], v[174:175]
	;; [unrolled: 1-line block ×8, first 2 shown]
	v_fma_f64 v[76:77], v[48:49], v[104:105], -v[106:107]
	v_fma_f64 v[30:31], v[52:53], v[100:101], -v[102:103]
	;; [unrolled: 1-line block ×5, first 2 shown]
	v_add_f64 v[68:69], v[90:91], v[92:93]
	v_fma_f64 v[12:13], v[82:83], v[160:161], -v[162:163]
	v_add_f64 v[70:71], v[84:85], v[86:87]
	v_fma_f64 v[14:15], v[80:81], v[164:165], -v[166:167]
	v_fma_f64 v[48:49], v[54:55], v[108:109], -v[110:111]
	v_add_f64 v[100:101], v[18:19], v[36:37]
	v_fma_f64 v[66:67], v[66:67], v[136:137], -v[138:139]
	v_fma_f64 v[60:61], v[60:61], v[148:149], -v[150:151]
	;; [unrolled: 1-line block ×4, first 2 shown]
	v_add_f64 v[102:103], v[32:33], v[34:35]
	v_fma_f64 v[62:63], v[62:63], v[144:145], -v[146:147]
	v_add_f64 v[104:105], v[0:1], v[90:91]
	v_add_f64 v[80:81], v[16:17], v[28:29]
	v_add_f64 v[58:59], v[24:25], v[38:39]
	v_add_f64 v[108:109], v[2:3], v[84:85]
	v_add_f64 v[82:83], v[26:27], v[88:89]
	v_add_f64 v[110:111], v[4:5], v[18:19]
	v_add_f64 v[106:107], v[76:77], -v[30:31]
	v_add_f64 v[112:113], v[6:7], v[32:33]
	v_add_f64 v[114:115], v[8:9], v[24:25]
	;; [unrolled: 1-line block ×3, first 2 shown]
	v_fma_f64 v[68:69], v[68:69], -0.5, v[0:1]
	v_add_f64 v[124:125], v[64:65], -v[50:51]
	v_fma_f64 v[70:71], v[70:71], -0.5, v[2:3]
	v_add_f64 v[2:3], v[12:13], -v[14:15]
	v_add_f64 v[122:123], v[78:79], -v[48:49]
	v_fma_f64 v[4:5], v[100:101], -0.5, v[4:5]
	v_add_f64 v[100:101], v[66:67], -v[52:53]
	v_lshlrev_b32_sdwa v168, v99, v188 dst_sel:DWORD dst_unused:UNUSED_PAD src0_sel:DWORD src1_sel:BYTE_0
	v_lshlrev_b32_sdwa v136, v99, v189 dst_sel:DWORD dst_unused:UNUSED_PAD src0_sel:DWORD src1_sel:BYTE_0
	;; [unrolled: 1-line block ×3, first 2 shown]
	v_fma_f64 v[6:7], v[102:103], -0.5, v[6:7]
	v_add_f64 v[102:103], v[60:61], -v[54:55]
	v_lshlrev_b32_sdwa v138, v99, v191 dst_sel:DWORD dst_unused:UNUSED_PAD src0_sel:DWORD src1_sel:BYTE_0
	v_fma_f64 v[0:1], v[80:81], -0.5, v[72:73]
	v_fma_f64 v[8:9], v[58:59], -0.5, v[8:9]
	v_add_f64 v[58:59], v[62:63], -v[56:57]
	v_fma_f64 v[10:11], v[82:83], -0.5, v[10:11]
	v_add_f64 v[82:83], v[104:105], v[92:93]
	v_add_f64 v[104:105], v[108:109], v[86:87]
	;; [unrolled: 1-line block ×6, first 2 shown]
	v_fma_f64 v[120:121], v[106:107], s[6:7], v[68:69]
	v_fma_f64 v[106:107], v[106:107], s[4:5], v[68:69]
	v_lshlrev_b32_sdwa v139, v99, v192 dst_sel:DWORD dst_unused:UNUSED_PAD src0_sel:DWORD src1_sel:WORD_0
	v_fma_f64 v[126:127], v[122:123], s[6:7], v[70:71]
	v_fma_f64 v[122:123], v[122:123], s[4:5], v[70:71]
	;; [unrolled: 1-line block ×4, first 2 shown]
	v_lshlrev_b32_sdwa v140, v99, v193 dst_sel:DWORD dst_unused:UNUSED_PAD src0_sel:DWORD src1_sel:WORD_0
	v_add3_u32 v71, 0, v135, v168
	v_fma_f64 v[124:125], v[100:101], s[6:7], v[6:7]
	v_fma_f64 v[6:7], v[100:101], s[4:5], v[6:7]
	v_add3_u32 v70, 0, v194, v136
	v_fma_f64 v[80:81], v[2:3], s[4:5], v[0:1]
	v_fma_f64 v[100:101], v[102:103], s[6:7], v[8:9]
	v_fma_f64 v[8:9], v[102:103], s[4:5], v[8:9]
	v_fma_f64 v[102:103], v[58:59], s[6:7], v[10:11]
	v_fma_f64 v[10:11], v[58:59], s[4:5], v[10:11]
	v_add3_u32 v69, 0, v195, v137
	v_add3_u32 v68, 0, v196, v138
	;; [unrolled: 1-line block ×4, first 2 shown]
	ds_write2_b64 v71, v[82:83], v[120:121] offset1:12
	ds_write_b64 v71, v[106:107] offset:192
	ds_write2_b64 v70, v[104:105], v[126:127] offset1:12
	ds_write_b64 v70, v[122:123] offset:192
	;; [unrolled: 2-line block ×6, first 2 shown]
	s_and_saveexec_b32 s1, s0
	s_cbranch_execz .LBB0_27
; %bb.26:
	v_mul_f64 v[2:3], v[2:3], s[4:5]
	v_add_f64 v[4:5], v[72:73], v[16:17]
	v_add_f64 v[0:1], v[0:1], -v[2:3]
	v_add_f64 v[2:3], v[4:5], v[28:29]
	v_lshlrev_b32_sdwa v4, v99, v97 dst_sel:DWORD dst_unused:UNUSED_PAD src0_sel:DWORD src1_sel:WORD_0
	v_lshlrev_b32_sdwa v5, v99, v98 dst_sel:DWORD dst_unused:UNUSED_PAD src0_sel:DWORD src1_sel:WORD_0
	v_add3_u32 v4, 0, v4, v5
	ds_write2_b64 v4, v[2:3], v[0:1] offset1:12
	ds_write_b64 v4, v[80:81] offset:192
.LBB0_27:
	s_or_b32 exec_lo, exec_lo, s1
	v_add_f64 v[0:1], v[76:77], v[30:31]
	v_add_f64 v[2:3], v[78:79], v[48:49]
	;; [unrolled: 1-line block ×12, first 2 shown]
	v_add_f64 v[82:83], v[90:91], -v[92:93]
	v_add_f64 v[62:63], v[46:47], v[62:63]
	v_add_f64 v[18:19], v[18:19], -v[36:37]
	v_add_f64 v[24:25], v[24:25], -v[38:39]
	;; [unrolled: 1-line block ×3, first 2 shown]
	v_add_nc_u32_e32 v120, 0x2000, v133
	s_waitcnt lgkmcnt(0)
	s_barrier
	buffer_gl0_inv
	v_fma_f64 v[0:1], v[0:1], -0.5, v[20:21]
	v_add_f64 v[20:21], v[84:85], -v[86:87]
	v_fma_f64 v[2:3], v[2:3], -0.5, v[22:23]
	v_fma_f64 v[4:5], v[4:5], -0.5, v[40:41]
	v_add_f64 v[22:23], v[32:33], -v[34:35]
	v_fma_f64 v[6:7], v[6:7], -0.5, v[42:43]
	v_fma_f64 v[8:9], v[8:9], -0.5, v[44:45]
	;; [unrolled: 1-line block ×3, first 2 shown]
	v_add_f64 v[46:47], v[16:17], -v[28:29]
	v_fma_f64 v[44:45], v[72:73], -0.5, v[74:75]
	v_add_f64 v[72:73], v[76:77], v[30:31]
	v_add_f64 v[76:77], v[78:79], v[48:49]
	;; [unrolled: 1-line block ×3, first 2 shown]
	v_add_nc_u32_e32 v52, 0x400, v133
	v_add_nc_u32_e32 v49, 0x800, v133
	v_add_f64 v[64:65], v[64:65], v[50:51]
	v_add_nc_u32_e32 v53, 0xc00, v133
	v_add_nc_u32_e32 v50, 0x1000, v133
	;; [unrolled: 1-line block ×4, first 2 shown]
	v_add_f64 v[60:61], v[60:61], v[54:55]
	v_add_nc_u32_e32 v54, 0x1c00, v133
	v_add_f64 v[55:56], v[62:63], v[56:57]
	v_fma_f64 v[62:63], v[82:83], s[4:5], v[0:1]
	v_fma_f64 v[78:79], v[82:83], s[6:7], v[0:1]
	;; [unrolled: 1-line block ×12, first 2 shown]
	ds_read2_b64 v[0:3], v133 offset1:63
	ds_read2_b64 v[8:11], v52 offset0:124 offset1:187
	ds_read2_b64 v[16:19], v53 offset0:120 offset1:183
	;; [unrolled: 1-line block ×9, first 2 shown]
	v_fma_f64 v[82:83], v[46:47], s[6:7], v[44:45]
	s_waitcnt lgkmcnt(0)
	s_barrier
	buffer_gl0_inv
	ds_write2_b64 v71, v[72:73], v[62:63] offset1:12
	ds_write_b64 v71, v[78:79] offset:192
	ds_write2_b64 v70, v[76:77], v[84:85] offset1:12
	ds_write_b64 v70, v[86:87] offset:192
	ds_write2_b64 v69, v[64:65], v[88:89] offset1:12
	ds_write_b64 v69, v[90:91] offset:192
	ds_write2_b64 v68, v[66:67], v[92:93] offset1:12
	ds_write_b64 v68, v[99:100] offset:192
	ds_write2_b64 v59, v[60:61], v[101:102] offset1:12
	ds_write_b64 v59, v[103:104] offset:192
	ds_write2_b64 v58, v[55:56], v[105:106] offset1:12
	ds_write_b64 v58, v[107:108] offset:192
	s_and_saveexec_b32 s1, s0
	s_cbranch_execz .LBB0_29
; %bb.28:
	v_add_f64 v[12:13], v[74:75], v[12:13]
	v_mul_f64 v[46:47], v[46:47], s[4:5]
	v_add_f64 v[12:13], v[12:13], v[14:15]
	v_add_f64 v[14:15], v[46:47], v[44:45]
	v_mov_b32_e32 v44, 3
	v_lshlrev_b32_sdwa v45, v44, v97 dst_sel:DWORD dst_unused:UNUSED_PAD src0_sel:DWORD src1_sel:WORD_0
	v_lshlrev_b32_sdwa v44, v44, v98 dst_sel:DWORD dst_unused:UNUSED_PAD src0_sel:DWORD src1_sel:WORD_0
	v_add3_u32 v44, 0, v45, v44
	ds_write2_b64 v44, v[12:13], v[14:15] offset1:12
	ds_write_b64 v44, v[82:83] offset:192
.LBB0_29:
	s_or_b32 exec_lo, exec_lo, s1
	v_mul_lo_u16 v12, v96, 57
	v_cmp_gt_u32_e64 s0, 36, v130
	v_mul_lo_u16 v14, v94, 57
	v_mov_b32_e32 v15, 6
	s_waitcnt lgkmcnt(0)
	v_lshrrev_b16 v63, 11, v12
	v_mul_lo_u16 v12, v95, 57
	v_lshrrev_b16 v206, 11, v14
	s_barrier
	buffer_gl0_inv
	v_mul_lo_u16 v13, v63, 36
	v_lshrrev_b16 v72, 11, v12
	v_mul_lo_u16 v59, v206, 36
	v_mov_b32_e32 v210, 0x5a0
	s_mov_b32 s10, 0x134454ff
	v_sub_nc_u16 v129, v132, v13
	v_subrev_nc_u32_e32 v13, 36, v130
	v_mul_lo_u16 v12, v72, 36
	v_sub_nc_u16 v208, v134, v59
	v_mul_u32_u24_sdwa v214, v72, v210 dst_sel:DWORD dst_unused:UNUSED_PAD src0_sel:WORD_0 src1_sel:DWORD
	v_lshlrev_b32_sdwa v14, v15, v129 dst_sel:DWORD dst_unused:UNUSED_PAD src0_sel:DWORD src1_sel:BYTE_0
	v_cndmask_b32_e64 v73, v13, v130, s0
	v_sub_nc_u16 v207, v131, v12
	v_mov_b32_e32 v13, 0
	v_mul_u32_u24_sdwa v213, v63, v210 dst_sel:DWORD dst_unused:UNUSED_PAD src0_sel:WORD_0 src1_sel:DWORD
	s_clause 0x1
	global_load_dwordx4 v[44:47], v14, s[8:9] offset:560
	global_load_dwordx4 v[55:58], v14, s[8:9] offset:544
	v_lshlrev_b32_e32 v12, 2, v73
	v_lshlrev_b32_sdwa v74, v15, v207 dst_sel:DWORD dst_unused:UNUSED_PAD src0_sel:DWORD src1_sel:BYTE_0
	s_clause 0x1
	global_load_dwordx4 v[59:62], v14, s[8:9] offset:592
	global_load_dwordx4 v[64:67], v14, s[8:9] offset:576
	v_lshlrev_b32_sdwa v14, v15, v208 dst_sel:DWORD dst_unused:UNUSED_PAD src0_sel:DWORD src1_sel:BYTE_0
	v_lshlrev_b32_e32 v212, 3, v73
	v_lshlrev_b64 v[12:13], 4, v[12:13]
	s_clause 0x5
	global_load_dwordx4 v[68:71], v74, s[8:9] offset:544
	global_load_dwordx4 v[76:79], v74, s[8:9] offset:560
	;; [unrolled: 1-line block ×6, first 2 shown]
	s_mov_b32 s11, 0xbfee6f0e
	s_mov_b32 s17, 0x3fee6f0e
	v_add_co_u32 v12, s0, s8, v12
	v_add_co_ci_u32_e64 v13, s0, s9, v13, s0
	s_clause 0x5
	global_load_dwordx4 v[121:124], v14, s[8:9] offset:576
	global_load_dwordx4 v[125:128], v14, s[8:9] offset:592
	global_load_dwordx4 v[134:137], v[12:13], off offset:544
	global_load_dwordx4 v[138:141], v[12:13], off offset:560
	;; [unrolled: 1-line block ×4, first 2 shown]
	ds_read2_b64 v[12:15], v133 offset1:63
	ds_read2_b64 v[150:153], v52 offset0:124 offset1:187
	ds_read2_b64 v[154:157], v53 offset0:120 offset1:183
	;; [unrolled: 1-line block ×8, first 2 shown]
	s_mov_b32 s16, s10
	s_mov_b32 s6, 0x4755a5e
	;; [unrolled: 1-line block ×7, first 2 shown]
	v_cmp_lt_u32_e64 s0, 35, v130
	v_mov_b32_e32 v211, 3
	v_cndmask_b32_e64 v209, 0, 0x5a0, s0
	v_lshlrev_b32_sdwa v129, v211, v129 dst_sel:DWORD dst_unused:UNUSED_PAD src0_sel:DWORD src1_sel:BYTE_0
	v_cmp_gt_u32_e64 s0, 54, v130
	s_waitcnt vmcnt(15) lgkmcnt(6)
	v_mul_f64 v[72:73], v[156:157], v[46:47]
	s_waitcnt vmcnt(14)
	v_mul_f64 v[52:53], v[152:153], v[57:58]
	v_mul_f64 v[57:58], v[10:11], v[57:58]
	s_waitcnt vmcnt(13) lgkmcnt(4)
	v_mul_f64 v[90:91], v[164:165], v[61:62]
	s_waitcnt vmcnt(12)
	v_mul_f64 v[84:85], v[160:161], v[66:67]
	v_mul_f64 v[66:67], v[22:23], v[66:67]
	;; [unrolled: 1-line block ×3, first 2 shown]
	s_waitcnt vmcnt(9) lgkmcnt(1)
	v_mul_f64 v[184:185], v[174:175], v[88:89]
	v_mul_f64 v[114:115], v[166:167], v[70:71]
	;; [unrolled: 1-line block ×5, first 2 shown]
	s_waitcnt vmcnt(6)
	v_mul_f64 v[190:191], v[168:169], v[112:113]
	v_mul_f64 v[112:113], v[42:43], v[112:113]
	;; [unrolled: 1-line block ×4, first 2 shown]
	s_waitcnt vmcnt(2)
	v_mul_f64 v[200:201], v[154:155], v[140:141]
	s_waitcnt vmcnt(1)
	v_mul_f64 v[202:203], v[158:159], v[144:145]
	v_mul_f64 v[198:199], v[150:151], v[136:137]
	s_waitcnt vmcnt(0)
	v_mul_f64 v[204:205], v[162:163], v[148:149]
	s_waitcnt lgkmcnt(0)
	v_mul_f64 v[188:189], v[178:179], v[96:97]
	v_mul_f64 v[186:187], v[32:33], v[88:89]
	;; [unrolled: 1-line block ×8, first 2 shown]
	v_fma_f64 v[102:103], v[10:11], v[55:56], v[52:53]
	v_fma_f64 v[74:75], v[152:153], v[55:56], -v[57:58]
	v_fma_f64 v[98:99], v[18:19], v[44:45], v[72:73]
	v_fma_f64 v[100:101], v[22:23], v[64:65], v[84:85]
	v_fma_f64 v[54:55], v[160:161], v[64:65], -v[66:67]
	v_fma_f64 v[104:105], v[26:27], v[59:60], v[90:91]
	v_fma_f64 v[84:85], v[40:41], v[68:69], v[114:115]
	v_fma_f64 v[72:73], v[166:167], v[68:69], -v[70:71]
	v_fma_f64 v[64:65], v[170:171], v[76:77], -v[78:79]
	v_fma_f64 v[78:79], v[42:43], v[110:111], v[190:191]
	v_fma_f64 v[68:69], v[168:169], v[110:111], -v[112:113]
	v_fma_f64 v[110:111], v[16:17], v[138:139], v[200:201]
	v_fma_f64 v[112:113], v[20:21], v[142:143], v[202:203]
	v_mul_f64 v[140:141], v[16:17], v[140:141]
	v_mul_f64 v[144:145], v[20:21], v[144:145]
	v_fma_f64 v[66:67], v[172:173], v[106:107], -v[108:109]
	v_fma_f64 v[108:109], v[8:9], v[134:135], v[198:199]
	v_fma_f64 v[114:115], v[24:25], v[146:147], v[204:205]
	v_fma_f64 v[88:89], v[36:37], v[76:77], v[182:183]
	v_fma_f64 v[90:91], v[32:33], v[86:87], v[184:185]
	v_mul_f64 v[123:124], v[34:35], v[123:124]
	v_fma_f64 v[26:27], v[164:165], v[59:60], -v[92:93]
	v_fma_f64 v[92:93], v[28:29], v[94:95], v[188:189]
	v_mul_f64 v[127:128], v[30:31], v[127:128]
	v_fma_f64 v[56:57], v[174:175], v[86:87], -v[186:187]
	v_fma_f64 v[76:77], v[38:39], v[106:107], v[192:193]
	v_fma_f64 v[86:87], v[34:35], v[121:122], v[194:195]
	v_fma_f64 v[52:53], v[178:179], v[94:95], -v[96:97]
	v_fma_f64 v[94:95], v[30:31], v[125:126], v[196:197]
	v_fma_f64 v[62:63], v[156:157], v[44:45], -v[46:47]
	v_fma_f64 v[106:107], v[150:151], v[134:135], -v[136:137]
	;; [unrolled: 1-line block ×3, first 2 shown]
	v_add_f64 v[10:11], v[98:99], v[100:101]
	v_add_f64 v[28:29], v[102:103], v[104:105]
	;; [unrolled: 1-line block ×3, first 2 shown]
	v_fma_f64 v[96:97], v[154:155], v[138:139], -v[140:141]
	v_fma_f64 v[70:71], v[158:159], v[142:143], -v[144:145]
	v_add_f64 v[20:21], v[102:103], -v[98:99]
	v_add_f64 v[22:23], v[104:105], -v[100:101]
	v_add_f64 v[44:45], v[108:109], v[114:115]
	v_add_f64 v[8:9], v[2:3], v[102:103]
	;; [unrolled: 1-line block ×3, first 2 shown]
	v_fma_f64 v[60:61], v[176:177], v[121:122], -v[123:124]
	v_add_f64 v[16:17], v[74:75], -v[26:27]
	v_add_f64 v[123:124], v[84:85], v[92:93]
	v_fma_f64 v[24:25], v[180:181], v[125:126], -v[127:128]
	v_add_f64 v[30:31], v[98:99], -v[102:103]
	v_add_f64 v[32:33], v[100:101], -v[104:105]
	v_add_f64 v[136:137], v[76:77], v[86:87]
	v_add_f64 v[34:35], v[4:5], v[84:85]
	;; [unrolled: 1-line block ×3, first 2 shown]
	v_add_f64 v[18:19], v[62:63], -v[54:55]
	v_add_f64 v[46:47], v[84:85], -v[88:89]
	;; [unrolled: 1-line block ×5, first 2 shown]
	v_add_f64 v[134:135], v[6:7], v[78:79]
	v_add_f64 v[152:153], v[0:1], v[108:109]
	v_add_f64 v[154:155], v[106:107], -v[58:59]
	v_fma_f64 v[10:11], v[10:11], -0.5, v[2:3]
	v_fma_f64 v[2:3], v[28:29], -0.5, v[2:3]
	;; [unrolled: 1-line block ×3, first 2 shown]
	v_add_f64 v[144:145], v[78:79], -v[76:77]
	v_add_f64 v[146:147], v[94:95], -v[86:87]
	;; [unrolled: 1-line block ×3, first 2 shown]
	v_fma_f64 v[0:1], v[44:45], -0.5, v[0:1]
	v_add_f64 v[38:39], v[72:73], -v[52:53]
	v_fma_f64 v[36:37], v[36:37], -0.5, v[4:5]
	v_add_f64 v[40:41], v[64:65], -v[56:57]
	v_add_f64 v[148:149], v[76:77], -v[78:79]
	;; [unrolled: 1-line block ×3, first 2 shown]
	v_fma_f64 v[4:5], v[123:124], -0.5, v[4:5]
	v_add_f64 v[138:139], v[68:69], -v[24:25]
	v_add_f64 v[20:21], v[20:21], v[22:23]
	v_fma_f64 v[22:23], v[136:137], -0.5, v[6:7]
	v_add_f64 v[142:143], v[66:67], -v[60:61]
	v_fma_f64 v[6:7], v[140:141], -0.5, v[6:7]
	v_add_f64 v[158:159], v[108:109], -v[110:111]
	v_add_f64 v[42:43], v[114:115], -v[112:113]
	v_add_f64 v[30:31], v[30:31], v[32:33]
	v_add_f64 v[32:33], v[34:35], v[88:89]
	;; [unrolled: 1-line block ×6, first 2 shown]
	v_fma_f64 v[134:135], v[16:17], s[10:11], v[10:11]
	v_fma_f64 v[10:11], v[16:17], s[16:17], v[10:11]
	;; [unrolled: 1-line block ×4, first 2 shown]
	v_add_f64 v[44:45], v[110:111], -v[108:109]
	v_add_f64 v[160:161], v[112:113], -v[114:115]
	v_add_f64 v[123:124], v[144:145], v[146:147]
	v_fma_f64 v[144:145], v[156:157], s[16:17], v[0:1]
	v_fma_f64 v[0:1], v[156:157], s[10:11], v[0:1]
	;; [unrolled: 1-line block ×3, first 2 shown]
	v_add_f64 v[8:9], v[8:9], v[98:99]
	v_fma_f64 v[2:3], v[18:19], s[10:11], v[2:3]
	v_fma_f64 v[146:147], v[38:39], s[10:11], v[36:37]
	v_add_f64 v[125:126], v[148:149], v[150:151]
	v_fma_f64 v[36:37], v[38:39], s[16:17], v[36:37]
	v_fma_f64 v[148:149], v[40:41], s[16:17], v[4:5]
	;; [unrolled: 1-line block ×7, first 2 shown]
	v_add_f64 v[42:43], v[158:159], v[42:43]
	v_add_f64 v[127:128], v[127:128], v[112:113]
	v_fma_f64 v[134:135], v[18:19], s[6:7], v[134:135]
	v_fma_f64 v[10:11], v[18:19], s[12:13], v[10:11]
	;; [unrolled: 1-line block ×4, first 2 shown]
	v_add_f64 v[44:45], v[44:45], v[160:161]
	v_add_f64 v[32:33], v[32:33], v[90:91]
	v_fma_f64 v[140:141], v[154:155], s[6:7], v[144:145]
	v_fma_f64 v[0:1], v[154:155], s[12:13], v[0:1]
	;; [unrolled: 1-line block ×3, first 2 shown]
	v_add_f64 v[8:9], v[8:9], v[100:101]
	v_fma_f64 v[16:17], v[16:17], s[12:13], v[2:3]
	v_fma_f64 v[144:145], v[40:41], s[6:7], v[146:147]
	v_add_f64 v[121:122], v[121:122], v[86:87]
	v_fma_f64 v[36:37], v[40:41], s[12:13], v[36:37]
	v_fma_f64 v[40:41], v[38:39], s[6:7], v[148:149]
	;; [unrolled: 1-line block ×7, first 2 shown]
	v_mul_u32_u24_sdwa v150, v206, v210 dst_sel:DWORD dst_unused:UNUSED_PAD src0_sel:WORD_0 src1_sel:DWORD
	v_add_f64 v[127:128], v[127:128], v[114:115]
	v_fma_f64 v[134:135], v[20:21], s[4:5], v[134:135]
	v_fma_f64 v[148:149], v[20:21], s[4:5], v[10:11]
	;; [unrolled: 1-line block ×4, first 2 shown]
	v_add_f64 v[32:33], v[32:33], v[92:93]
	v_fma_f64 v[140:141], v[44:45], s[4:5], v[140:141]
	v_fma_f64 v[44:45], v[44:45], s[4:5], v[0:1]
	;; [unrolled: 1-line block ×3, first 2 shown]
	v_add_f64 v[142:143], v[8:9], v[104:105]
	v_fma_f64 v[16:17], v[30:31], s[4:5], v[16:17]
	v_fma_f64 v[30:31], v[34:35], s[4:5], v[144:145]
	v_add_f64 v[2:3], v[121:122], v[94:95]
	v_fma_f64 v[0:1], v[34:35], s[4:5], v[36:37]
	v_fma_f64 v[34:35], v[46:47], s[4:5], v[40:41]
	;; [unrolled: 1-line block ×7, first 2 shown]
	v_lshlrev_b32_sdwa v38, v211, v207 dst_sel:DWORD dst_unused:UNUSED_PAD src0_sel:DWORD src1_sel:BYTE_0
	v_lshlrev_b32_sdwa v39, v211, v208 dst_sel:DWORD dst_unused:UNUSED_PAD src0_sel:DWORD src1_sel:BYTE_0
	v_add3_u32 v124, 0, v209, v212
	v_add3_u32 v123, 0, v213, v129
	ds_read2_b64 v[20:23], v133 offset0:126 offset1:189
	v_add3_u32 v122, 0, v214, v38
	v_add3_u32 v121, 0, v150, v39
	s_waitcnt lgkmcnt(0)
	s_barrier
	buffer_gl0_inv
	ds_write2_b64 v124, v[127:128], v[136:137] offset1:36
	ds_write2_b64 v124, v[140:141], v[44:45] offset0:72 offset1:108
	ds_write_b64 v124, v[28:29] offset:1152
	ds_write2_b64 v123, v[142:143], v[134:135] offset1:36
	ds_write2_b64 v123, v[18:19], v[16:17] offset0:72 offset1:108
	ds_write_b64 v123, v[148:149] offset:1152
	;; [unrolled: 3-line block ×4, first 2 shown]
	s_waitcnt lgkmcnt(0)
	s_barrier
	buffer_gl0_inv
	ds_read2_b64 v[16:19], v133 offset1:63
	ds_read2_b64 v[40:43], v133 offset0:180 offset1:243
	ds_read2_b64 v[28:31], v49 offset0:104 offset1:167
	ds_read2_b64 v[32:35], v50 offset0:28 offset1:91
	ds_read2_b64 v[44:47], v48 offset0:80 offset1:143
	ds_read2_b64 v[36:39], v51 offset0:132 offset1:195
	ds_read2_b64 v[48:51], v120 offset0:56 offset1:119
	s_and_saveexec_b32 s1, s0
	s_cbranch_execz .LBB0_31
; %bb.30:
	v_add_nc_u32_e32 v0, 0x200, v133
	v_add_nc_u32_e32 v4, 0xe00, v133
	;; [unrolled: 1-line block ×3, first 2 shown]
	ds_read2_b64 v[0:3], v0 offset0:62 offset1:242
	ds_read2_b64 v[4:7], v4 offset0:38 offset1:218
	;; [unrolled: 1-line block ×3, first 2 shown]
	ds_read_b64 v[80:81], v133 offset:9648
.LBB0_31:
	s_or_b32 exec_lo, exec_lo, s1
	v_add_f64 v[125:126], v[96:97], v[70:71]
	v_add_f64 v[127:128], v[106:107], v[58:59]
	v_add_f64 v[108:109], v[108:109], -v[114:115]
	v_add_f64 v[114:115], v[62:63], v[54:55]
	v_add_f64 v[138:139], v[74:75], v[26:27]
	v_add_f64 v[102:103], v[102:103], -v[104:105]
	v_add_f64 v[104:105], v[64:65], v[56:57]
	v_add_f64 v[134:135], v[12:13], v[106:107]
	;; [unrolled: 1-line block ×4, first 2 shown]
	v_add_f64 v[110:111], v[110:111], -v[112:113]
	v_add_f64 v[150:151], v[68:69], v[24:25]
	v_add_f64 v[112:113], v[106:107], -v[96:97]
	v_add_f64 v[136:137], v[58:59], -v[70:71]
	v_add_f64 v[142:143], v[14:15], v[74:75]
	v_add_f64 v[84:85], v[84:85], -v[92:93]
	v_add_f64 v[106:107], v[96:97], -v[106:107]
	;; [unrolled: 1-line block ×4, first 2 shown]
	v_add_f64 v[152:153], v[20:21], v[72:73]
	v_add_f64 v[78:79], v[78:79], -v[94:95]
	v_add_f64 v[88:89], v[88:89], -v[90:91]
	v_fma_f64 v[125:126], v[125:126], -0.5, v[12:13]
	v_fma_f64 v[12:13], v[127:128], -0.5, v[12:13]
	v_add_f64 v[154:155], v[22:23], v[68:69]
	v_fma_f64 v[92:93], v[114:115], -0.5, v[14:15]
	v_fma_f64 v[14:15], v[138:139], -0.5, v[14:15]
	v_add_f64 v[76:77], v[76:77], -v[86:87]
	v_fma_f64 v[94:95], v[104:105], -0.5, v[20:21]
	v_add_f64 v[96:97], v[134:135], v[96:97]
	v_fma_f64 v[20:21], v[144:145], -0.5, v[20:21]
	v_fma_f64 v[104:105], v[148:149], -0.5, v[22:23]
	v_add_f64 v[100:101], v[74:75], -v[62:63]
	v_fma_f64 v[22:23], v[150:151], -0.5, v[22:23]
	v_add_f64 v[146:147], v[26:27], -v[54:55]
	v_add_f64 v[74:75], v[62:63], -v[74:75]
	v_add_f64 v[112:113], v[112:113], v[136:137]
	v_add_f64 v[62:63], v[142:143], v[62:63]
	v_add_f64 v[127:128], v[54:55], -v[26:27]
	v_add_f64 v[106:107], v[106:107], v[140:141]
	v_add_f64 v[90:91], v[72:73], -v[64:65]
	v_add_f64 v[114:115], v[52:53], -v[56:57]
	;; [unrolled: 1-line block ×3, first 2 shown]
	v_add_f64 v[64:65], v[152:153], v[64:65]
	v_fma_f64 v[134:135], v[108:109], s[16:17], v[125:126]
	v_fma_f64 v[125:126], v[108:109], s[10:11], v[125:126]
	;; [unrolled: 1-line block ×9, first 2 shown]
	v_add_f64 v[138:139], v[56:57], -v[52:53]
	v_add_f64 v[70:71], v[96:97], v[70:71]
	v_fma_f64 v[94:95], v[84:85], s[10:11], v[94:95]
	v_fma_f64 v[96:97], v[88:89], s[10:11], v[20:21]
	;; [unrolled: 1-line block ×3, first 2 shown]
	v_add_f64 v[86:87], v[68:69], -v[66:67]
	v_add_f64 v[148:149], v[24:25], -v[60:61]
	;; [unrolled: 1-line block ×3, first 2 shown]
	v_add_f64 v[66:67], v[154:155], v[66:67]
	v_fma_f64 v[150:151], v[78:79], s[16:17], v[104:105]
	v_fma_f64 v[152:153], v[76:77], s[10:11], v[22:23]
	;; [unrolled: 1-line block ×7, first 2 shown]
	v_add_f64 v[144:145], v[60:61], -v[24:25]
	v_fma_f64 v[12:13], v[108:109], s[6:7], v[12:13]
	v_add_f64 v[54:55], v[62:63], v[54:55]
	v_fma_f64 v[62:63], v[98:99], s[12:13], v[136:137]
	v_add_f64 v[100:101], v[100:101], v[146:147]
	v_fma_f64 v[92:93], v[98:99], s[6:7], v[92:93]
	v_fma_f64 v[98:99], v[102:103], s[12:13], v[140:141]
	v_add_f64 v[74:75], v[74:75], v[127:128]
	v_fma_f64 v[14:15], v[102:103], s[6:7], v[14:15]
	v_add_f64 v[56:57], v[64:65], v[56:57]
	;; [unrolled: 2-line block ×3, first 2 shown]
	v_fma_f64 v[88:89], v[88:89], s[6:7], v[94:95]
	v_fma_f64 v[94:95], v[84:85], s[12:13], v[96:97]
	v_add_f64 v[72:73], v[72:73], v[138:139]
	v_fma_f64 v[20:21], v[84:85], s[6:7], v[20:21]
	v_add_f64 v[60:61], v[66:67], v[60:61]
	;; [unrolled: 2-line block ×3, first 2 shown]
	v_fma_f64 v[86:87], v[78:79], s[12:13], v[152:153]
	v_fma_f64 v[78:79], v[78:79], s[6:7], v[22:23]
	;; [unrolled: 1-line block ×3, first 2 shown]
	v_add_f64 v[68:69], v[68:69], v[144:145]
	v_add_f64 v[58:59], v[70:71], v[58:59]
	v_fma_f64 v[70:71], v[112:113], s[4:5], v[134:135]
	v_fma_f64 v[102:103], v[106:107], s[4:5], v[125:126]
	v_fma_f64 v[104:105], v[106:107], s[4:5], v[12:13]
	v_fma_f64 v[96:97], v[112:113], s[4:5], v[110:111]
	v_add_f64 v[54:55], v[54:55], v[26:27]
	v_fma_f64 v[62:63], v[100:101], s[4:5], v[62:63]
	v_fma_f64 v[98:99], v[74:75], s[4:5], v[98:99]
	v_fma_f64 v[74:75], v[74:75], s[4:5], v[14:15]
	v_fma_f64 v[92:93], v[100:101], s[4:5], v[92:93]
	;; [unrolled: 5-line block ×3, first 2 shown]
	v_add_f64 v[14:15], v[60:61], v[24:25]
	v_add_nc_u32_e32 v60, 0x800, v133
	v_fma_f64 v[20:21], v[84:85], s[4:5], v[66:67]
	v_add_nc_u32_e32 v61, 0x1000, v133
	s_waitcnt lgkmcnt(0)
	v_fma_f64 v[26:27], v[84:85], s[4:5], v[76:77]
	v_fma_f64 v[22:23], v[68:69], s[4:5], v[86:87]
	v_fma_f64 v[24:25], v[68:69], s[4:5], v[78:79]
	s_barrier
	buffer_gl0_inv
	v_add_nc_u32_e32 v76, 0x2000, v133
	ds_write2_b64 v124, v[58:59], v[70:71] offset1:36
	ds_write2_b64 v124, v[102:103], v[104:105] offset0:72 offset1:108
	ds_write_b64 v124, v[96:97] offset:1152
	ds_write2_b64 v123, v[54:55], v[62:63] offset1:36
	ds_write2_b64 v123, v[98:99], v[74:75] offset0:72 offset1:108
	ds_write_b64 v123, v[92:93] offset:1152
	;; [unrolled: 3-line block ×4, first 2 shown]
	v_add_nc_u32_e32 v64, 0x1400, v133
	v_add_nc_u32_e32 v72, 0x1800, v133
	s_waitcnt lgkmcnt(0)
	s_barrier
	buffer_gl0_inv
	ds_read2_b64 v[52:55], v133 offset1:63
	ds_read2_b64 v[56:59], v133 offset0:180 offset1:243
	ds_read2_b64 v[68:71], v60 offset0:104 offset1:167
	;; [unrolled: 1-line block ×6, first 2 shown]
	s_and_saveexec_b32 s1, s0
	s_cbranch_execz .LBB0_33
; %bb.32:
	v_add_nc_u32_e32 v12, 0x200, v133
	v_add_nc_u32_e32 v20, 0xe00, v133
	;; [unrolled: 1-line block ×3, first 2 shown]
	ds_read2_b64 v[12:15], v12 offset0:62 offset1:242
	ds_read2_b64 v[20:23], v20 offset0:38 offset1:218
	;; [unrolled: 1-line block ×3, first 2 shown]
	ds_read_b64 v[82:83], v133 offset:9648
.LBB0_33:
	s_or_b32 exec_lo, exec_lo, s1
	s_and_saveexec_b32 s1, vcc_lo
	s_cbranch_execz .LBB0_36
; %bb.34:
	v_mul_u32_u24_e32 v84, 6, v132
	v_mul_u32_u24_e32 v90, 6, v130
	s_mov_b32 s6, 0xe976ee23
	s_mov_b32 s7, 0x3fe11646
	;; [unrolled: 1-line block ×3, first 2 shown]
	v_lshlrev_b32_e32 v84, 4, v84
	v_lshlrev_b32_e32 v106, 4, v90
	s_mov_b32 s22, 0x36b3c0b5
	s_mov_b32 s20, 0x429ad128
	;; [unrolled: 1-line block ×3, first 2 shown]
	v_add_co_u32 v88, s1, s8, v84
	v_add_co_ci_u32_e64 v89, null, s9, 0, s1
	s_mov_b32 s23, 0x3fac98ee
	v_add_co_u32 v84, vcc_lo, 0x800, v88
	v_add_co_ci_u32_e32 v85, vcc_lo, 0, v89, vcc_lo
	v_add_co_u32 v86, vcc_lo, 0xb20, v88
	v_add_co_ci_u32_e32 v87, vcc_lo, 0, v89, vcc_lo
	s_mov_b32 s21, 0xbfebfeb5
	s_clause 0x3
	global_load_dwordx4 v[90:93], v[84:85], off offset:800
	global_load_dwordx4 v[94:97], v[86:87], off offset:48
	;; [unrolled: 1-line block ×4, first 2 shown]
	v_add_co_u32 v86, vcc_lo, 0xb60, v88
	v_add_co_u32 v88, s1, s8, v106
	v_add_co_ci_u32_e32 v87, vcc_lo, 0, v89, vcc_lo
	v_add_co_ci_u32_e64 v89, null, s9, 0, s1
	s_clause 0x1
	global_load_dwordx4 v[106:109], v[84:85], off offset:864
	global_load_dwordx4 v[110:113], v[86:87], off offset:16
	v_add_co_u32 v84, vcc_lo, 0x800, v88
	v_add_co_ci_u32_e32 v85, vcc_lo, 0, v89, vcc_lo
	v_add_co_u32 v86, vcc_lo, 0xb60, v88
	v_add_co_ci_u32_e32 v87, vcc_lo, 0, v89, vcc_lo
	;; [unrolled: 2-line block ×3, first 2 shown]
	s_clause 0x5
	global_load_dwordx4 v[120:123], v[84:85], off offset:800
	global_load_dwordx4 v[124:127], v[86:87], off offset:16
	;; [unrolled: 1-line block ×6, first 2 shown]
	v_mul_lo_u32 v84, s3, v118
	v_mad_u64_u32 v[87:88], null, s2, v118, 0
	v_lshrrev_b32_e32 v89, 2, v130
	v_add_nc_u32_e32 v118, 63, v130
	v_mul_lo_u32 v86, s2, v119
	v_mov_b32_e32 v85, 0
	s_mov_b32 s4, 0xb247c609
	v_mul_hi_u32 v89, 0x16c16c17, v89
	v_lshrrev_b32_e32 v114, 2, v118
	s_mov_b32 s5, 0xbfd5d0dc
	s_mov_b32 s10, 0xaaaaaaaa
	;; [unrolled: 1-line block ×3, first 2 shown]
	v_add3_u32 v88, v88, v86, v84
	v_mul_hi_u32 v119, 0x16c16c17, v114
	v_lshlrev_b64 v[114:115], 4, v[116:117]
	v_lshrrev_b32_e32 v89, 2, v89
	s_mov_b32 s11, 0xbff2aaaa
	s_mov_b32 s19, 0x3fd5d0dc
	;; [unrolled: 1-line block ×4, first 2 shown]
	v_mul_lo_u32 v84, 0xb4, v89
	v_lshrrev_b32_e32 v116, 2, v119
	s_mov_b32 s18, s4
	s_mov_b32 s12, s16
	;; [unrolled: 1-line block ×4, first 2 shown]
	v_mul_lo_u32 v117, 0xb4, v116
	v_lshlrev_b64 v[87:88], 4, v[87:88]
	v_sub_nc_u32_e32 v84, v130, v84
	v_add_nc_u32_e32 v86, 0x7e, v130
	v_lshlrev_b32_e32 v119, 4, v84
	v_sub_nc_u32_e32 v84, v118, v117
	v_add_co_u32 v87, s1, s14, v87
	v_add_co_ci_u32_e64 v89, s1, s15, v88, s1
	v_mad_u64_u32 v[116:117], null, 0x4ec, v116, v[84:85]
	v_mov_b32_e32 v117, v85
	v_add_co_u32 v88, s1, v87, v114
	v_add_co_ci_u32_e64 v89, s1, v89, v115, s1
	v_cmp_gt_u32_e32 vcc_lo, 0xb4, v86
	v_add_nc_u32_e32 v84, 0xb4, v116
	v_lshlrev_b64 v[154:155], 4, v[116:117]
	v_add_co_u32 v114, s1, v88, v119
	v_add_co_ci_u32_e64 v115, s1, 0, v89, s1
	v_lshlrev_b64 v[158:159], 4, v[84:85]
	v_add_nc_u32_e32 v84, 0x168, v116
	v_add_co_u32 v118, s1, 0x800, v114
	v_add_co_ci_u32_e64 v119, s1, 0, v115, s1
	v_lshlrev_b64 v[160:161], 4, v[84:85]
	v_add_nc_u32_e32 v84, 0x21c, v116
	;; [unrolled: 4-line block ×4, first 2 shown]
	v_add_co_u32 v150, s1, 0x2800, v114
	v_add_co_ci_u32_e64 v151, s1, 0, v115, s1
	v_add_co_u32 v152, s1, 0x3800, v114
	v_add_co_ci_u32_e64 v153, s1, 0, v115, s1
	;; [unrolled: 2-line block ×6, first 2 shown]
	s_waitcnt vmcnt(11) lgkmcnt(5)
	v_mul_f64 v[166:167], v[58:59], v[92:93]
	s_waitcnt vmcnt(10) lgkmcnt(2)
	v_mul_f64 v[170:171], v[66:67], v[96:97]
	s_waitcnt vmcnt(9)
	v_mul_f64 v[172:173], v[62:63], v[100:101]
	s_waitcnt vmcnt(8)
	v_mul_f64 v[174:175], v[70:71], v[104:105]
	v_mul_f64 v[92:93], v[42:43], v[92:93]
	;; [unrolled: 1-line block ×5, first 2 shown]
	s_waitcnt vmcnt(7) lgkmcnt(1)
	v_mul_f64 v[176:177], v[74:75], v[108:109]
	s_waitcnt vmcnt(6) lgkmcnt(0)
	v_mul_f64 v[168:169], v[78:79], v[112:113]
	v_mul_f64 v[112:113], v[50:51], v[112:113]
	;; [unrolled: 1-line block ×3, first 2 shown]
	s_waitcnt vmcnt(5)
	v_mul_f64 v[178:179], v[56:57], v[122:123]
	s_waitcnt vmcnt(4)
	v_mul_f64 v[180:181], v[76:77], v[126:127]
	v_mul_f64 v[126:127], v[48:49], v[126:127]
	;; [unrolled: 1-line block ×3, first 2 shown]
	s_waitcnt vmcnt(1)
	v_mul_f64 v[186:187], v[68:69], v[142:143]
	s_waitcnt vmcnt(0)
	v_mul_f64 v[188:189], v[72:73], v[146:147]
	v_mul_f64 v[146:147], v[36:37], v[146:147]
	;; [unrolled: 1-line block ×7, first 2 shown]
	v_fma_f64 v[46:47], v[46:47], v[94:95], v[170:171]
	v_fma_f64 v[34:35], v[34:35], v[98:99], v[172:173]
	;; [unrolled: 1-line block ×4, first 2 shown]
	v_fma_f64 v[78:79], v[78:79], v[110:111], -v[112:113]
	v_fma_f64 v[58:59], v[58:59], v[90:91], -v[92:93]
	;; [unrolled: 1-line block ×6, first 2 shown]
	v_fma_f64 v[40:41], v[40:41], v[120:121], v[178:179]
	v_fma_f64 v[48:49], v[48:49], v[124:125], v[180:181]
	v_fma_f64 v[76:77], v[76:77], v[124:125], -v[126:127]
	v_fma_f64 v[56:57], v[56:57], v[120:121], -v[122:123]
	v_fma_f64 v[28:29], v[28:29], v[140:141], v[186:187]
	v_fma_f64 v[36:37], v[36:37], v[144:145], v[188:189]
	v_fma_f64 v[72:73], v[72:73], v[144:145], -v[146:147]
	v_fma_f64 v[68:69], v[68:69], v[140:141], -v[142:143]
	v_fma_f64 v[42:43], v[42:43], v[90:91], v[166:167]
	v_fma_f64 v[50:51], v[50:51], v[110:111], v[168:169]
	;; [unrolled: 1-line block ×4, first 2 shown]
	v_fma_f64 v[60:61], v[60:61], v[136:137], -v[138:139]
	v_fma_f64 v[64:65], v[64:65], v[132:133], -v[134:135]
	v_add_f64 v[96:97], v[46:47], -v[34:35]
	v_add_f64 v[98:99], v[30:31], -v[38:39]
	v_add_f64 v[30:31], v[30:31], v[38:39]
	v_add_f64 v[100:101], v[58:59], v[78:79]
	;; [unrolled: 1-line block ×4, first 2 shown]
	v_add_f64 v[38:39], v[58:59], -v[78:79]
	v_add_f64 v[104:105], v[66:67], v[62:63]
	v_add_f64 v[46:47], v[66:67], -v[62:63]
	v_add_f64 v[58:59], v[40:41], -v[48:49]
	v_add_f64 v[40:41], v[40:41], v[48:49]
	v_add_f64 v[62:63], v[56:57], v[76:77]
	v_lshlrev_b64 v[92:93], 4, v[84:85]
	v_add_f64 v[48:49], v[28:29], v[36:37]
	v_add_nc_u32_e32 v84, 0x438, v116
	v_add_f64 v[66:67], v[68:69], v[72:73]
	v_add_f64 v[28:29], v[28:29], -v[36:37]
	v_add_f64 v[94:95], v[42:43], -v[50:51]
	v_add_f64 v[42:43], v[42:43], v[50:51]
	v_add_f64 v[50:51], v[70:71], -v[74:75]
	v_add_f64 v[70:71], v[44:45], -v[32:33]
	v_add_f64 v[36:37], v[64:65], v[60:61]
	v_add_f64 v[32:33], v[44:45], v[32:33]
	v_add_f64 v[44:45], v[56:57], -v[76:77]
	v_add_f64 v[56:57], v[64:65], -v[60:61]
	v_add_f64 v[60:61], v[68:69], -v[72:73]
	v_add_f64 v[68:69], v[96:97], -v[98:99]
	v_add_f64 v[74:75], v[100:101], v[102:103]
	v_add_f64 v[72:73], v[96:97], v[98:99]
	v_add_f64 v[76:77], v[100:101], -v[104:105]
	v_add_f64 v[78:79], v[104:105], -v[102:103]
	;; [unrolled: 1-line block ×5, first 2 shown]
	v_add_co_u32 v90, s1, v88, v162
	v_add_f64 v[102:103], v[40:41], v[48:49]
	v_add_f64 v[116:117], v[62:63], v[66:67]
	v_add_f64 v[138:139], v[28:29], -v[58:59]
	v_add_f64 v[64:65], v[94:95], -v[96:97]
	v_add_f64 v[96:97], v[42:43], v[30:31]
	v_add_f64 v[106:107], v[42:43], -v[34:35]
	v_add_f64 v[112:113], v[46:47], -v[50:51]
	;; [unrolled: 1-line block ×6, first 2 shown]
	v_add_f64 v[70:71], v[70:71], v[28:29]
	v_add_f64 v[122:123], v[62:63], -v[36:37]
	v_add_f64 v[124:125], v[36:37], -v[66:67]
	;; [unrolled: 1-line block ×6, first 2 shown]
	v_add_f64 v[74:75], v[104:105], v[74:75]
	v_add_f64 v[28:29], v[56:57], v[60:61]
	v_add_f64 v[56:57], v[66:67], -v[62:63]
	v_add_f64 v[126:127], v[40:41], -v[32:33]
	v_add_f64 v[66:67], v[32:33], v[102:103]
	v_add_f64 v[36:37], v[36:37], v[116:117]
	v_add_f64 v[40:41], v[48:49], -v[40:41]
	v_mul_f64 v[48:49], v[68:69], s[6:7]
	v_add_f64 v[60:61], v[94:95], v[72:73]
	v_add_f64 v[72:73], v[34:35], v[96:97]
	;; [unrolled: 1-line block ×3, first 2 shown]
	v_add_f64 v[50:51], v[50:51], -v[38:39]
	v_mul_f64 v[62:63], v[76:77], s[24:25]
	v_mul_f64 v[68:69], v[78:79], s[22:23]
	;; [unrolled: 1-line block ×7, first 2 shown]
	v_add_f64 v[58:59], v[58:59], v[70:71]
	v_mul_f64 v[70:71], v[136:137], s[6:7]
	v_mul_f64 v[108:109], v[138:139], s[20:21]
	v_mul_f64 v[112:113], v[140:141], s[20:21]
	v_add_f64 v[30:31], v[54:55], v[74:75]
	v_mul_f64 v[54:55], v[124:125], s[22:23]
	v_mul_f64 v[116:117], v[132:133], s[22:23]
	;; [unrolled: 1-line block ×3, first 2 shown]
	v_add_f64 v[34:35], v[52:53], v[36:37]
	v_add_f64 v[32:33], v[16:17], v[66:67]
	v_mul_f64 v[132:133], v[126:127], s[24:25]
	v_add_f64 v[44:45], v[44:45], v[28:29]
	v_fma_f64 v[52:53], v[64:65], s[4:5], v[48:49]
	v_add_f64 v[28:29], v[18:19], v[72:73]
	v_add_f64 v[38:39], v[38:39], v[46:47]
	v_mul_f64 v[46:47], v[50:51], s[20:21]
	v_fma_f64 v[16:17], v[76:77], s[24:25], v[68:69]
	v_fma_f64 v[18:19], v[106:107], s[24:25], v[78:79]
	v_fma_f64 v[62:63], v[100:101], s[16:17], -v[62:63]
	v_fma_f64 v[64:65], v[64:65], s[18:19], -v[96:97]
	;; [unrolled: 1-line block ×5, first 2 shown]
	v_fma_f64 v[98:99], v[120:121], s[4:5], v[104:105]
	v_fma_f64 v[100:101], v[134:135], s[4:5], v[70:71]
	v_fma_f64 v[102:103], v[120:121], s[18:19], -v[108:109]
	v_fma_f64 v[106:107], v[134:135], s[18:19], -v[112:113]
	v_fma_f64 v[74:75], v[74:75], s[10:11], v[30:31]
	v_fma_f64 v[108:109], v[122:123], s[24:25], v[54:55]
	;; [unrolled: 1-line block ×3, first 2 shown]
	v_fma_f64 v[104:105], v[138:139], s[20:21], -v[104:105]
	v_fma_f64 v[70:71], v[140:141], s[20:21], -v[70:71]
	v_fma_f64 v[36:37], v[36:37], s[10:11], v[34:35]
	v_fma_f64 v[120:121], v[56:57], s[16:17], -v[124:125]
	v_fma_f64 v[54:55], v[56:57], s[12:13], -v[54:55]
	v_fma_f64 v[56:57], v[66:67], s[10:11], v[32:33]
	;; [unrolled: 3-line block ×3, first 2 shown]
	v_fma_f64 v[42:43], v[42:43], s[12:13], -v[78:79]
	v_fma_f64 v[78:79], v[60:61], s[2:3], v[52:53]
	v_fma_f64 v[52:53], v[72:73], s[10:11], v[28:29]
	v_fma_f64 v[46:47], v[110:111], s[18:19], -v[46:47]
	v_fma_f64 v[50:51], v[50:51], s[20:21], -v[94:95]
	v_fma_f64 v[64:65], v[60:61], s[2:3], v[64:65]
	v_fma_f64 v[48:49], v[60:61], s[2:3], v[48:49]
	v_fma_f64 v[60:61], v[58:59], s[2:3], v[98:99]
	v_fma_f64 v[94:95], v[44:45], s[2:3], v[100:101]
	v_fma_f64 v[72:73], v[58:59], s[2:3], v[102:103]
	v_fma_f64 v[98:99], v[44:45], s[2:3], v[106:107]
	v_add_f64 v[16:17], v[16:17], v[74:75]
	v_add_f64 v[62:63], v[62:63], v[74:75]
	;; [unrolled: 1-line block ×3, first 2 shown]
	v_fma_f64 v[74:75], v[58:59], s[2:3], v[104:105]
	v_fma_f64 v[44:45], v[44:45], s[2:3], v[70:71]
	v_add_f64 v[100:101], v[108:109], v[36:37]
	v_add_f64 v[70:71], v[120:121], v[36:37]
	;; [unrolled: 1-line block ×6, first 2 shown]
	v_fma_f64 v[108:109], v[38:39], s[2:3], v[76:77]
	v_add_co_ci_u32_e64 v91, s1, v89, v163, s1
	v_add_f64 v[116:117], v[18:19], v[52:53]
	v_fma_f64 v[110:111], v[38:39], s[2:3], v[46:47]
	v_add_f64 v[96:97], v[96:97], v[52:53]
	v_fma_f64 v[112:113], v[38:39], s[2:3], v[50:51]
	v_add_f64 v[120:121], v[42:43], v[52:53]
	v_add_co_u32 v106, s1, v88, v164
	v_lshlrev_b64 v[122:123], 4, v[84:85]
	v_add_f64 v[18:19], v[78:79], v[16:17]
	v_add_f64 v[38:39], v[64:65], v[62:63]
	v_add_f64 v[50:51], v[62:63], -v[64:65]
	v_add_f64 v[42:43], v[68:69], -v[48:49]
	v_add_f64 v[46:47], v[48:49], v[68:69]
	v_add_f64 v[54:55], v[60:61], v[100:101]
	;; [unrolled: 1-line block ×3, first 2 shown]
	v_add_f64 v[62:63], v[36:37], -v[74:75]
	v_add_f64 v[66:67], v[74:75], v[36:37]
	v_add_f64 v[70:71], v[70:71], -v[72:73]
	v_add_f64 v[74:75], v[100:101], -v[60:61]
	v_add_f64 v[72:73], v[94:95], v[102:103]
	v_add_f64 v[68:69], v[98:99], v[104:105]
	v_add_f64 v[64:65], v[40:41], -v[44:45]
	v_add_f64 v[60:61], v[44:45], v[40:41]
	v_add_f64 v[56:57], v[104:105], -v[98:99]
	v_add_f64 v[52:53], v[102:103], -v[94:95]
	;; [unrolled: 1-line block ×3, first 2 shown]
	v_add_f64 v[76:77], v[108:109], v[116:117]
	v_add_f64 v[48:49], v[110:111], v[96:97]
	v_add_f64 v[44:45], v[120:121], -v[112:113]
	v_add_f64 v[40:41], v[112:113], v[120:121]
	v_add_f64 v[36:37], v[96:97], -v[110:111]
	v_add_f64 v[16:17], v[116:117], -v[108:109]
	v_add_co_ci_u32_e64 v107, s1, v89, v165, s1
	v_add_co_u32 v92, s1, v88, v92
	v_add_co_ci_u32_e64 v93, s1, v89, v93, s1
	v_add_co_u32 v94, s1, v88, v122
	v_add_co_ci_u32_e64 v95, s1, v89, v123, s1
	global_store_dwordx4 v[114:115], v[32:35], off
	global_store_dwordx4 v[118:119], v[72:75], off offset:832
	global_store_dwordx4 v[128:129], v[68:71], off offset:1664
	;; [unrolled: 1-line block ×6, first 2 shown]
	global_store_dwordx4 v[154:155], v[28:31], off
	global_store_dwordx4 v[158:159], v[76:79], off
	;; [unrolled: 1-line block ×7, first 2 shown]
	s_and_b32 exec_lo, exec_lo, vcc_lo
	s_cbranch_execz .LBB0_36
; %bb.35:
	v_subrev_nc_u32_e32 v16, 54, v130
	v_mov_b32_e32 v87, v85
	v_cndmask_b32_e64 v16, v16, v131, s0
	v_mul_i32_i24_e32 v84, 6, v16
	v_lshlrev_b64 v[16:17], 4, v[84:85]
	v_add_nc_u32_e32 v84, 0x132, v130
	v_add_co_u32 v16, vcc_lo, s8, v16
	v_add_co_ci_u32_e32 v17, vcc_lo, s9, v17, vcc_lo
	v_add_co_u32 v44, vcc_lo, 0xb20, v16
	v_add_co_ci_u32_e32 v45, vcc_lo, 0, v17, vcc_lo
	v_add_co_u32 v36, vcc_lo, 0x800, v16
	v_add_co_ci_u32_e32 v37, vcc_lo, 0, v17, vcc_lo
	v_add_co_u32 v32, vcc_lo, 0xb60, v16
	v_add_co_ci_u32_e32 v33, vcc_lo, 0, v17, vcc_lo
	s_clause 0x5
	global_load_dwordx4 v[16:19], v[36:37], off offset:800
	global_load_dwordx4 v[28:31], v[44:45], off offset:16
	;; [unrolled: 1-line block ×6, first 2 shown]
	s_waitcnt vmcnt(5)
	v_mul_f64 v[48:49], v[14:15], v[18:19]
	v_mul_f64 v[18:19], v[2:3], v[18:19]
	s_waitcnt vmcnt(4)
	v_mul_f64 v[50:51], v[20:21], v[30:31]
	v_mul_f64 v[30:31], v[4:5], v[30:31]
	;; [unrolled: 3-line block ×6, first 2 shown]
	v_fma_f64 v[2:3], v[2:3], v[16:17], v[48:49]
	v_fma_f64 v[14:15], v[14:15], v[16:17], -v[18:19]
	v_fma_f64 v[4:5], v[4:5], v[28:29], v[50:51]
	v_fma_f64 v[16:17], v[20:21], v[28:29], -v[30:31]
	;; [unrolled: 2-line block ×6, first 2 shown]
	v_add_f64 v[28:29], v[2:3], v[18:19]
	v_add_f64 v[30:31], v[14:15], v[20:21]
	;; [unrolled: 1-line block ×4, first 2 shown]
	v_add_f64 v[4:5], v[4:5], -v[10:11]
	v_add_f64 v[10:11], v[16:17], -v[26:27]
	v_add_f64 v[16:17], v[6:7], v[8:9]
	v_add_f64 v[26:27], v[22:23], v[24:25]
	v_add_f64 v[6:7], v[8:9], -v[6:7]
	v_add_f64 v[8:9], v[24:25], -v[22:23]
	v_add_f64 v[18:19], v[2:3], -v[18:19]
	v_add_f64 v[14:15], v[14:15], -v[20:21]
	v_add_f64 v[2:3], v[32:33], v[28:29]
	v_add_f64 v[20:21], v[34:35], v[30:31]
	v_add_f64 v[22:23], v[28:29], -v[16:17]
	v_add_f64 v[24:25], v[30:31], -v[26:27]
	v_add_f64 v[36:37], v[6:7], -v[4:5]
	v_add_f64 v[38:39], v[8:9], -v[10:11]
	v_add_f64 v[40:41], v[4:5], -v[18:19]
	v_add_f64 v[42:43], v[10:11], -v[14:15]
	v_add_f64 v[4:5], v[6:7], v[4:5]
	v_add_f64 v[10:11], v[8:9], v[10:11]
	v_add_f64 v[6:7], v[18:19], -v[6:7]
	v_add_f64 v[8:9], v[14:15], -v[8:9]
	v_add_f64 v[44:45], v[16:17], v[2:3]
	v_add_f64 v[20:21], v[26:27], v[20:21]
	v_add_f64 v[16:17], v[16:17], -v[32:33]
	v_add_f64 v[26:27], v[26:27], -v[34:35]
	v_mul_f64 v[22:23], v[22:23], s[24:25]
	v_mul_f64 v[24:25], v[24:25], s[24:25]
	;; [unrolled: 1-line block ×6, first 2 shown]
	v_add_f64 v[4:5], v[4:5], v[18:19]
	v_add_f64 v[10:11], v[10:11], v[14:15]
	;; [unrolled: 1-line block ×4, first 2 shown]
	v_add_f64 v[12:13], v[32:33], -v[28:29]
	v_add_f64 v[28:29], v[34:35], -v[30:31]
	v_mul_f64 v[30:31], v[16:17], s[22:23]
	v_mul_f64 v[32:33], v[26:27], s[22:23]
	v_fma_f64 v[14:15], v[16:17], s[22:23], v[22:23]
	v_fma_f64 v[16:17], v[26:27], s[22:23], v[24:25]
	;; [unrolled: 1-line block ×4, first 2 shown]
	v_fma_f64 v[36:37], v[40:41], s[20:21], -v[36:37]
	v_fma_f64 v[38:39], v[42:43], s[20:21], -v[38:39]
	;; [unrolled: 1-line block ×4, first 2 shown]
	v_lshlrev_b64 v[34:35], 4, v[86:87]
	v_fma_f64 v[40:41], v[44:45], s[10:11], v[0:1]
	v_fma_f64 v[20:21], v[20:21], s[10:11], v[2:3]
	v_fma_f64 v[22:23], v[12:13], s[16:17], -v[22:23]
	v_fma_f64 v[24:25], v[28:29], s[16:17], -v[24:25]
	;; [unrolled: 1-line block ×4, first 2 shown]
	v_lshlrev_b64 v[30:31], 4, v[84:85]
	v_add_nc_u32_e32 v84, 0x1e6, v130
	v_fma_f64 v[42:43], v[4:5], s[2:3], v[18:19]
	v_fma_f64 v[26:27], v[10:11], s[2:3], v[26:27]
	;; [unrolled: 1-line block ×6, first 2 shown]
	v_add_co_u32 v32, vcc_lo, v88, v34
	v_add_co_ci_u32_e32 v33, vcc_lo, v89, v35, vcc_lo
	v_lshlrev_b64 v[34:35], 4, v[84:85]
	v_add_nc_u32_e32 v84, 0x29a, v130
	v_add_f64 v[46:47], v[14:15], v[40:41]
	v_add_f64 v[48:49], v[16:17], v[20:21]
	;; [unrolled: 1-line block ×6, first 2 shown]
	v_add_co_u32 v28, vcc_lo, v88, v30
	v_lshlrev_b64 v[4:5], 4, v[84:85]
	v_add_co_ci_u32_e32 v29, vcc_lo, v89, v31, vcc_lo
	v_add_co_u32 v30, vcc_lo, v88, v34
	v_add_co_ci_u32_e32 v31, vcc_lo, v89, v35, vcc_lo
	v_add_nc_u32_e32 v84, 0x34e, v130
	v_add_co_u32 v40, vcc_lo, v88, v4
	v_add_co_ci_u32_e32 v41, vcc_lo, v89, v5, vcc_lo
	v_lshlrev_b64 v[34:35], 4, v[84:85]
	v_add_nc_u32_e32 v84, 0x402, v130
	v_add_f64 v[4:5], v[26:27], v[46:47]
	v_add_f64 v[6:7], v[48:49], -v[42:43]
	v_add_f64 v[8:9], v[44:45], v[22:23]
	v_add_f64 v[10:11], v[24:25], -v[38:39]
	v_add_f64 v[12:13], v[16:17], -v[36:37]
	v_add_f64 v[14:15], v[18:19], v[20:21]
	v_add_f64 v[16:17], v[36:37], v[16:17]
	v_add_f64 v[18:19], v[20:21], -v[18:19]
	v_add_f64 v[20:21], v[22:23], -v[44:45]
	v_add_f64 v[22:23], v[38:39], v[24:25]
	v_add_f64 v[24:25], v[46:47], -v[26:27]
	v_add_f64 v[26:27], v[42:43], v[48:49]
	v_lshlrev_b64 v[36:37], 4, v[84:85]
	v_add_nc_u32_e32 v84, 0x4b6, v130
	v_add_co_u32 v34, vcc_lo, v88, v34
	v_add_co_ci_u32_e32 v35, vcc_lo, v89, v35, vcc_lo
	v_lshlrev_b64 v[38:39], 4, v[84:85]
	v_add_co_u32 v36, vcc_lo, v88, v36
	v_add_co_ci_u32_e32 v37, vcc_lo, v89, v37, vcc_lo
	v_add_co_u32 v38, vcc_lo, v88, v38
	v_add_co_ci_u32_e32 v39, vcc_lo, v89, v39, vcc_lo
	global_store_dwordx4 v[32:33], v[0:3], off
	global_store_dwordx4 v[28:29], v[4:7], off
	;; [unrolled: 1-line block ×7, first 2 shown]
.LBB0_36:
	s_endpgm
	.section	.rodata,"a",@progbits
	.p2align	6, 0x0
	.amdhsa_kernel fft_rtc_back_len1260_factors_2_2_3_3_5_7_wgs_63_tpt_63_halfLds_dp_op_CI_CI_unitstride_sbrr_dirReg
		.amdhsa_group_segment_fixed_size 0
		.amdhsa_private_segment_fixed_size 0
		.amdhsa_kernarg_size 104
		.amdhsa_user_sgpr_count 6
		.amdhsa_user_sgpr_private_segment_buffer 1
		.amdhsa_user_sgpr_dispatch_ptr 0
		.amdhsa_user_sgpr_queue_ptr 0
		.amdhsa_user_sgpr_kernarg_segment_ptr 1
		.amdhsa_user_sgpr_dispatch_id 0
		.amdhsa_user_sgpr_flat_scratch_init 0
		.amdhsa_user_sgpr_private_segment_size 0
		.amdhsa_wavefront_size32 1
		.amdhsa_uses_dynamic_stack 0
		.amdhsa_system_sgpr_private_segment_wavefront_offset 0
		.amdhsa_system_sgpr_workgroup_id_x 1
		.amdhsa_system_sgpr_workgroup_id_y 0
		.amdhsa_system_sgpr_workgroup_id_z 0
		.amdhsa_system_sgpr_workgroup_info 0
		.amdhsa_system_vgpr_workitem_id 0
		.amdhsa_next_free_vgpr 215
		.amdhsa_next_free_sgpr 27
		.amdhsa_reserve_vcc 1
		.amdhsa_reserve_flat_scratch 0
		.amdhsa_float_round_mode_32 0
		.amdhsa_float_round_mode_16_64 0
		.amdhsa_float_denorm_mode_32 3
		.amdhsa_float_denorm_mode_16_64 3
		.amdhsa_dx10_clamp 1
		.amdhsa_ieee_mode 1
		.amdhsa_fp16_overflow 0
		.amdhsa_workgroup_processor_mode 1
		.amdhsa_memory_ordered 1
		.amdhsa_forward_progress 0
		.amdhsa_shared_vgpr_count 0
		.amdhsa_exception_fp_ieee_invalid_op 0
		.amdhsa_exception_fp_denorm_src 0
		.amdhsa_exception_fp_ieee_div_zero 0
		.amdhsa_exception_fp_ieee_overflow 0
		.amdhsa_exception_fp_ieee_underflow 0
		.amdhsa_exception_fp_ieee_inexact 0
		.amdhsa_exception_int_div_zero 0
	.end_amdhsa_kernel
	.text
.Lfunc_end0:
	.size	fft_rtc_back_len1260_factors_2_2_3_3_5_7_wgs_63_tpt_63_halfLds_dp_op_CI_CI_unitstride_sbrr_dirReg, .Lfunc_end0-fft_rtc_back_len1260_factors_2_2_3_3_5_7_wgs_63_tpt_63_halfLds_dp_op_CI_CI_unitstride_sbrr_dirReg
                                        ; -- End function
	.section	.AMDGPU.csdata,"",@progbits
; Kernel info:
; codeLenInByte = 16228
; NumSgprs: 29
; NumVgprs: 215
; ScratchSize: 0
; MemoryBound: 1
; FloatMode: 240
; IeeeMode: 1
; LDSByteSize: 0 bytes/workgroup (compile time only)
; SGPRBlocks: 3
; VGPRBlocks: 26
; NumSGPRsForWavesPerEU: 29
; NumVGPRsForWavesPerEU: 215
; Occupancy: 4
; WaveLimiterHint : 1
; COMPUTE_PGM_RSRC2:SCRATCH_EN: 0
; COMPUTE_PGM_RSRC2:USER_SGPR: 6
; COMPUTE_PGM_RSRC2:TRAP_HANDLER: 0
; COMPUTE_PGM_RSRC2:TGID_X_EN: 1
; COMPUTE_PGM_RSRC2:TGID_Y_EN: 0
; COMPUTE_PGM_RSRC2:TGID_Z_EN: 0
; COMPUTE_PGM_RSRC2:TIDIG_COMP_CNT: 0
	.text
	.p2alignl 6, 3214868480
	.fill 48, 4, 3214868480
	.type	__hip_cuid_4d1f20ed1a4bb96f,@object ; @__hip_cuid_4d1f20ed1a4bb96f
	.section	.bss,"aw",@nobits
	.globl	__hip_cuid_4d1f20ed1a4bb96f
__hip_cuid_4d1f20ed1a4bb96f:
	.byte	0                               ; 0x0
	.size	__hip_cuid_4d1f20ed1a4bb96f, 1

	.ident	"AMD clang version 19.0.0git (https://github.com/RadeonOpenCompute/llvm-project roc-6.4.0 25133 c7fe45cf4b819c5991fe208aaa96edf142730f1d)"
	.section	".note.GNU-stack","",@progbits
	.addrsig
	.addrsig_sym __hip_cuid_4d1f20ed1a4bb96f
	.amdgpu_metadata
---
amdhsa.kernels:
  - .args:
      - .actual_access:  read_only
        .address_space:  global
        .offset:         0
        .size:           8
        .value_kind:     global_buffer
      - .offset:         8
        .size:           8
        .value_kind:     by_value
      - .actual_access:  read_only
        .address_space:  global
        .offset:         16
        .size:           8
        .value_kind:     global_buffer
      - .actual_access:  read_only
        .address_space:  global
        .offset:         24
        .size:           8
        .value_kind:     global_buffer
      - .actual_access:  read_only
        .address_space:  global
        .offset:         32
        .size:           8
        .value_kind:     global_buffer
      - .offset:         40
        .size:           8
        .value_kind:     by_value
      - .actual_access:  read_only
        .address_space:  global
        .offset:         48
        .size:           8
        .value_kind:     global_buffer
      - .actual_access:  read_only
        .address_space:  global
        .offset:         56
        .size:           8
        .value_kind:     global_buffer
      - .offset:         64
        .size:           4
        .value_kind:     by_value
      - .actual_access:  read_only
        .address_space:  global
        .offset:         72
        .size:           8
        .value_kind:     global_buffer
      - .actual_access:  read_only
        .address_space:  global
        .offset:         80
        .size:           8
        .value_kind:     global_buffer
      - .actual_access:  read_only
        .address_space:  global
        .offset:         88
        .size:           8
        .value_kind:     global_buffer
      - .actual_access:  write_only
        .address_space:  global
        .offset:         96
        .size:           8
        .value_kind:     global_buffer
    .group_segment_fixed_size: 0
    .kernarg_segment_align: 8
    .kernarg_segment_size: 104
    .language:       OpenCL C
    .language_version:
      - 2
      - 0
    .max_flat_workgroup_size: 63
    .name:           fft_rtc_back_len1260_factors_2_2_3_3_5_7_wgs_63_tpt_63_halfLds_dp_op_CI_CI_unitstride_sbrr_dirReg
    .private_segment_fixed_size: 0
    .sgpr_count:     29
    .sgpr_spill_count: 0
    .symbol:         fft_rtc_back_len1260_factors_2_2_3_3_5_7_wgs_63_tpt_63_halfLds_dp_op_CI_CI_unitstride_sbrr_dirReg.kd
    .uniform_work_group_size: 1
    .uses_dynamic_stack: false
    .vgpr_count:     215
    .vgpr_spill_count: 0
    .wavefront_size: 32
    .workgroup_processor_mode: 1
amdhsa.target:   amdgcn-amd-amdhsa--gfx1030
amdhsa.version:
  - 1
  - 2
...

	.end_amdgpu_metadata
